;; amdgpu-corpus repo=ROCm/rocFFT kind=compiled arch=gfx906 opt=O3
	.text
	.amdgcn_target "amdgcn-amd-amdhsa--gfx906"
	.amdhsa_code_object_version 6
	.protected	fft_rtc_back_len2880_factors_10_6_6_2_2_2_wgs_96_tpt_96_halfLds_dp_op_CI_CI_unitstride_sbrr_C2R_dirReg ; -- Begin function fft_rtc_back_len2880_factors_10_6_6_2_2_2_wgs_96_tpt_96_halfLds_dp_op_CI_CI_unitstride_sbrr_C2R_dirReg
	.globl	fft_rtc_back_len2880_factors_10_6_6_2_2_2_wgs_96_tpt_96_halfLds_dp_op_CI_CI_unitstride_sbrr_C2R_dirReg
	.p2align	8
	.type	fft_rtc_back_len2880_factors_10_6_6_2_2_2_wgs_96_tpt_96_halfLds_dp_op_CI_CI_unitstride_sbrr_C2R_dirReg,@function
fft_rtc_back_len2880_factors_10_6_6_2_2_2_wgs_96_tpt_96_halfLds_dp_op_CI_CI_unitstride_sbrr_C2R_dirReg: ; @fft_rtc_back_len2880_factors_10_6_6_2_2_2_wgs_96_tpt_96_halfLds_dp_op_CI_CI_unitstride_sbrr_C2R_dirReg
; %bb.0:
	s_load_dwordx4 s[8:11], s[4:5], 0x58
	s_load_dwordx4 s[12:15], s[4:5], 0x0
	;; [unrolled: 1-line block ×3, first 2 shown]
	v_mul_u32_u24_e32 v1, 0x2ab, v0
	v_add_u32_sdwa v5, s6, v1 dst_sel:DWORD dst_unused:UNUSED_PAD src0_sel:DWORD src1_sel:WORD_1
	v_mov_b32_e32 v3, 0
	s_waitcnt lgkmcnt(0)
	v_cmp_lt_u64_e64 s[0:1], s[14:15], 2
	v_mov_b32_e32 v1, 0
	v_mov_b32_e32 v6, v3
	s_and_b64 vcc, exec, s[0:1]
	v_mov_b32_e32 v2, 0
	s_cbranch_vccnz .LBB0_8
; %bb.1:
	s_load_dwordx2 s[0:1], s[4:5], 0x10
	s_add_u32 s2, s18, 8
	s_addc_u32 s3, s19, 0
	s_add_u32 s6, s16, 8
	v_mov_b32_e32 v1, 0
	s_addc_u32 s7, s17, 0
	v_mov_b32_e32 v2, 0
	s_waitcnt lgkmcnt(0)
	s_add_u32 s20, s0, 8
	v_mov_b32_e32 v55, v2
	s_addc_u32 s21, s1, 0
	s_mov_b64 s[22:23], 1
	v_mov_b32_e32 v54, v1
.LBB0_2:                                ; =>This Inner Loop Header: Depth=1
	s_load_dwordx2 s[24:25], s[20:21], 0x0
                                        ; implicit-def: $vgpr56_vgpr57
	s_waitcnt lgkmcnt(0)
	v_or_b32_e32 v4, s25, v6
	v_cmp_ne_u64_e32 vcc, 0, v[3:4]
	s_and_saveexec_b64 s[0:1], vcc
	s_xor_b64 s[26:27], exec, s[0:1]
	s_cbranch_execz .LBB0_4
; %bb.3:                                ;   in Loop: Header=BB0_2 Depth=1
	v_cvt_f32_u32_e32 v4, s24
	v_cvt_f32_u32_e32 v7, s25
	s_sub_u32 s0, 0, s24
	s_subb_u32 s1, 0, s25
	v_mac_f32_e32 v4, 0x4f800000, v7
	v_rcp_f32_e32 v4, v4
	v_mul_f32_e32 v4, 0x5f7ffffc, v4
	v_mul_f32_e32 v7, 0x2f800000, v4
	v_trunc_f32_e32 v7, v7
	v_mac_f32_e32 v4, 0xcf800000, v7
	v_cvt_u32_f32_e32 v7, v7
	v_cvt_u32_f32_e32 v4, v4
	v_mul_lo_u32 v8, s0, v7
	v_mul_hi_u32 v9, s0, v4
	v_mul_lo_u32 v11, s1, v4
	v_mul_lo_u32 v10, s0, v4
	v_add_u32_e32 v8, v9, v8
	v_add_u32_e32 v8, v8, v11
	v_mul_hi_u32 v9, v4, v10
	v_mul_lo_u32 v11, v4, v8
	v_mul_hi_u32 v13, v4, v8
	v_mul_hi_u32 v12, v7, v10
	v_mul_lo_u32 v10, v7, v10
	v_mul_hi_u32 v14, v7, v8
	v_add_co_u32_e32 v9, vcc, v9, v11
	v_addc_co_u32_e32 v11, vcc, 0, v13, vcc
	v_mul_lo_u32 v8, v7, v8
	v_add_co_u32_e32 v9, vcc, v9, v10
	v_addc_co_u32_e32 v9, vcc, v11, v12, vcc
	v_addc_co_u32_e32 v10, vcc, 0, v14, vcc
	v_add_co_u32_e32 v8, vcc, v9, v8
	v_addc_co_u32_e32 v9, vcc, 0, v10, vcc
	v_add_co_u32_e32 v4, vcc, v4, v8
	v_addc_co_u32_e32 v7, vcc, v7, v9, vcc
	v_mul_lo_u32 v8, s0, v7
	v_mul_hi_u32 v9, s0, v4
	v_mul_lo_u32 v10, s1, v4
	v_mul_lo_u32 v11, s0, v4
	v_add_u32_e32 v8, v9, v8
	v_add_u32_e32 v8, v8, v10
	v_mul_lo_u32 v12, v4, v8
	v_mul_hi_u32 v13, v4, v11
	v_mul_hi_u32 v14, v4, v8
	v_mul_hi_u32 v10, v7, v11
	v_mul_lo_u32 v11, v7, v11
	v_mul_hi_u32 v9, v7, v8
	v_add_co_u32_e32 v12, vcc, v13, v12
	v_addc_co_u32_e32 v13, vcc, 0, v14, vcc
	v_mul_lo_u32 v8, v7, v8
	v_add_co_u32_e32 v11, vcc, v12, v11
	v_addc_co_u32_e32 v10, vcc, v13, v10, vcc
	v_addc_co_u32_e32 v9, vcc, 0, v9, vcc
	v_add_co_u32_e32 v8, vcc, v10, v8
	v_addc_co_u32_e32 v9, vcc, 0, v9, vcc
	v_add_co_u32_e32 v4, vcc, v4, v8
	v_addc_co_u32_e32 v9, vcc, v7, v9, vcc
	v_mad_u64_u32 v[7:8], s[0:1], v5, v9, 0
	v_mul_hi_u32 v10, v5, v4
	v_add_co_u32_e32 v11, vcc, v10, v7
	v_addc_co_u32_e32 v12, vcc, 0, v8, vcc
	v_mad_u64_u32 v[7:8], s[0:1], v6, v4, 0
	v_mad_u64_u32 v[9:10], s[0:1], v6, v9, 0
	v_add_co_u32_e32 v4, vcc, v11, v7
	v_addc_co_u32_e32 v4, vcc, v12, v8, vcc
	v_addc_co_u32_e32 v7, vcc, 0, v10, vcc
	v_add_co_u32_e32 v4, vcc, v4, v9
	v_addc_co_u32_e32 v9, vcc, 0, v7, vcc
	v_mul_lo_u32 v10, s25, v4
	v_mul_lo_u32 v11, s24, v9
	v_mad_u64_u32 v[7:8], s[0:1], s24, v4, 0
	v_add3_u32 v8, v8, v11, v10
	v_sub_u32_e32 v10, v6, v8
	v_mov_b32_e32 v11, s25
	v_sub_co_u32_e32 v7, vcc, v5, v7
	v_subb_co_u32_e64 v10, s[0:1], v10, v11, vcc
	v_subrev_co_u32_e64 v11, s[0:1], s24, v7
	v_subbrev_co_u32_e64 v10, s[0:1], 0, v10, s[0:1]
	v_cmp_le_u32_e64 s[0:1], s25, v10
	v_cndmask_b32_e64 v12, 0, -1, s[0:1]
	v_cmp_le_u32_e64 s[0:1], s24, v11
	v_cndmask_b32_e64 v11, 0, -1, s[0:1]
	v_cmp_eq_u32_e64 s[0:1], s25, v10
	v_cndmask_b32_e64 v10, v12, v11, s[0:1]
	v_add_co_u32_e64 v11, s[0:1], 2, v4
	v_addc_co_u32_e64 v12, s[0:1], 0, v9, s[0:1]
	v_add_co_u32_e64 v13, s[0:1], 1, v4
	v_addc_co_u32_e64 v14, s[0:1], 0, v9, s[0:1]
	v_subb_co_u32_e32 v8, vcc, v6, v8, vcc
	v_cmp_ne_u32_e64 s[0:1], 0, v10
	v_cmp_le_u32_e32 vcc, s25, v8
	v_cndmask_b32_e64 v10, v14, v12, s[0:1]
	v_cndmask_b32_e64 v12, 0, -1, vcc
	v_cmp_le_u32_e32 vcc, s24, v7
	v_cndmask_b32_e64 v7, 0, -1, vcc
	v_cmp_eq_u32_e32 vcc, s25, v8
	v_cndmask_b32_e32 v7, v12, v7, vcc
	v_cmp_ne_u32_e32 vcc, 0, v7
	v_cndmask_b32_e64 v7, v13, v11, s[0:1]
	v_cndmask_b32_e32 v57, v9, v10, vcc
	v_cndmask_b32_e32 v56, v4, v7, vcc
.LBB0_4:                                ;   in Loop: Header=BB0_2 Depth=1
	s_andn2_saveexec_b64 s[0:1], s[26:27]
	s_cbranch_execz .LBB0_6
; %bb.5:                                ;   in Loop: Header=BB0_2 Depth=1
	v_cvt_f32_u32_e32 v4, s24
	s_sub_i32 s26, 0, s24
	v_mov_b32_e32 v57, v3
	v_rcp_iflag_f32_e32 v4, v4
	v_mul_f32_e32 v4, 0x4f7ffffe, v4
	v_cvt_u32_f32_e32 v4, v4
	v_mul_lo_u32 v7, s26, v4
	v_mul_hi_u32 v7, v4, v7
	v_add_u32_e32 v4, v4, v7
	v_mul_hi_u32 v4, v5, v4
	v_mul_lo_u32 v7, v4, s24
	v_add_u32_e32 v8, 1, v4
	v_sub_u32_e32 v7, v5, v7
	v_subrev_u32_e32 v9, s24, v7
	v_cmp_le_u32_e32 vcc, s24, v7
	v_cndmask_b32_e32 v7, v7, v9, vcc
	v_cndmask_b32_e32 v4, v4, v8, vcc
	v_add_u32_e32 v8, 1, v4
	v_cmp_le_u32_e32 vcc, s24, v7
	v_cndmask_b32_e32 v56, v4, v8, vcc
.LBB0_6:                                ;   in Loop: Header=BB0_2 Depth=1
	s_or_b64 exec, exec, s[0:1]
	v_mul_lo_u32 v4, v57, s24
	v_mul_lo_u32 v9, v56, s25
	v_mad_u64_u32 v[7:8], s[0:1], v56, s24, 0
	s_load_dwordx2 s[0:1], s[6:7], 0x0
	s_load_dwordx2 s[24:25], s[2:3], 0x0
	v_add3_u32 v4, v8, v9, v4
	v_sub_co_u32_e32 v5, vcc, v5, v7
	v_subb_co_u32_e32 v4, vcc, v6, v4, vcc
	s_waitcnt lgkmcnt(0)
	v_mul_lo_u32 v6, s0, v4
	v_mul_lo_u32 v7, s1, v5
	v_mad_u64_u32 v[1:2], s[0:1], s0, v5, v[1:2]
	v_mul_lo_u32 v4, s24, v4
	v_mul_lo_u32 v8, s25, v5
	v_mad_u64_u32 v[54:55], s[0:1], s24, v5, v[54:55]
	s_add_u32 s22, s22, 1
	s_addc_u32 s23, s23, 0
	s_add_u32 s2, s2, 8
	v_add3_u32 v55, v8, v55, v4
	s_addc_u32 s3, s3, 0
	v_mov_b32_e32 v4, s14
	s_add_u32 s6, s6, 8
	v_mov_b32_e32 v5, s15
	s_addc_u32 s7, s7, 0
	v_cmp_ge_u64_e32 vcc, s[22:23], v[4:5]
	s_add_u32 s20, s20, 8
	v_add3_u32 v2, v7, v2, v6
	s_addc_u32 s21, s21, 0
	s_cbranch_vccnz .LBB0_9
; %bb.7:                                ;   in Loop: Header=BB0_2 Depth=1
	v_mov_b32_e32 v5, v56
	v_mov_b32_e32 v6, v57
	s_branch .LBB0_2
.LBB0_8:
	v_mov_b32_e32 v55, v2
	v_mov_b32_e32 v57, v6
	;; [unrolled: 1-line block ×4, first 2 shown]
.LBB0_9:
	s_load_dwordx2 s[4:5], s[4:5], 0x28
	s_lshl_b64 s[6:7], s[14:15], 3
	s_add_u32 s2, s18, s6
	s_addc_u32 s3, s19, s7
                                        ; implicit-def: $vgpr52
                                        ; implicit-def: $vgpr4_vgpr5
	s_waitcnt lgkmcnt(0)
	v_cmp_gt_u64_e64 s[0:1], s[4:5], v[56:57]
	v_cmp_le_u64_e32 vcc, s[4:5], v[56:57]
	s_and_saveexec_b64 s[4:5], vcc
	s_xor_b64 s[4:5], exec, s[4:5]
; %bb.10:
	s_mov_b32 s14, 0x2aaaaab
	v_mul_hi_u32 v1, v0, s14
	v_mov_b32_e32 v53, 0
	v_mul_u32_u24_e32 v1, 0x60, v1
	v_sub_u32_e32 v52, v0, v1
	v_mov_b32_e32 v4, v52
	v_mov_b32_e32 v5, v53
                                        ; implicit-def: $vgpr0
                                        ; implicit-def: $vgpr1_vgpr2
; %bb.11:
	s_or_saveexec_b64 s[4:5], s[4:5]
	s_load_dwordx2 s[2:3], s[2:3], 0x0
	s_xor_b64 exec, exec, s[4:5]
	s_cbranch_execz .LBB0_15
; %bb.12:
	s_add_u32 s6, s16, s6
	s_addc_u32 s7, s17, s7
	s_load_dwordx2 s[6:7], s[6:7], 0x0
	s_mov_b32 s14, 0x2aaaaab
	v_mul_hi_u32 v5, v0, s14
	v_lshlrev_b64 v[1:2], 4, v[1:2]
	s_waitcnt lgkmcnt(0)
	v_mul_lo_u32 v6, s7, v56
	v_mul_lo_u32 v7, s6, v57
	v_mad_u64_u32 v[3:4], s[6:7], s6, v56, 0
	v_mul_u32_u24_e32 v5, 0x60, v5
	v_sub_u32_e32 v52, v0, v5
	v_add3_u32 v4, v4, v7, v6
	v_lshlrev_b64 v[3:4], 4, v[3:4]
	v_mov_b32_e32 v0, s9
	v_add_co_u32_e32 v3, vcc, s8, v3
	v_addc_co_u32_e32 v0, vcc, v0, v4, vcc
	v_add_co_u32_e32 v1, vcc, v3, v1
	v_addc_co_u32_e32 v0, vcc, v0, v2, vcc
	v_lshlrev_b32_e32 v53, 4, v52
	v_add_co_u32_e32 v50, vcc, v1, v53
	v_addc_co_u32_e32 v51, vcc, 0, v0, vcc
	v_or_b32_e32 v10, 0x1800, v53
	v_add_co_u32_e32 v34, vcc, v1, v10
	v_or_b32_e32 v11, 0x3000, v53
	v_addc_co_u32_e32 v35, vcc, 0, v0, vcc
	v_add_co_u32_e32 v36, vcc, v1, v11
	v_addc_co_u32_e32 v37, vcc, 0, v0, vcc
	s_movk_i32 s6, 0x1000
	v_add_co_u32_e32 v38, vcc, s6, v50
	s_movk_i32 s7, 0x3000
	v_addc_co_u32_e32 v39, vcc, 0, v51, vcc
	v_add_co_u32_e32 v66, vcc, s7, v50
	global_load_dwordx4 v[2:5], v[50:51], off
	global_load_dwordx4 v[6:9], v[50:51], off offset:1536
	global_load_dwordx4 v[10:13], v[50:51], off offset:3072
	;; [unrolled: 1-line block ×3, first 2 shown]
	v_addc_co_u32_e32 v67, vcc, 0, v51, vcc
	global_load_dwordx4 v[18:21], v[34:35], off
	global_load_dwordx4 v[22:25], v[38:39], off offset:3584
	global_load_dwordx4 v[26:29], v[36:37], off
	global_load_dwordx4 v[30:33], v[66:67], off offset:1536
	v_or_b32_e32 v34, 0x4800, v53
	v_add_co_u32_e32 v42, vcc, v1, v34
	s_movk_i32 s8, 0x4000
	v_addc_co_u32_e32 v43, vcc, 0, v0, vcc
	v_add_co_u32_e32 v68, vcc, s8, v50
	v_addc_co_u32_e32 v69, vcc, 0, v51, vcc
	s_movk_i32 s6, 0x2000
	v_add_co_u32_e32 v70, vcc, s6, v50
	v_addc_co_u32_e32 v71, vcc, 0, v51, vcc
	s_movk_i32 s6, 0x5000
	v_add_co_u32_e32 v74, vcc, s6, v50
	v_addc_co_u32_e32 v75, vcc, 0, v51, vcc
	global_load_dwordx4 v[34:37], v[42:43], off
	global_load_dwordx4 v[38:41], v[68:69], off offset:3584
	s_nop 0
	global_load_dwordx4 v[42:45], v[70:71], off offset:1024
	global_load_dwordx4 v[46:49], v[70:71], off offset:2560
	;; [unrolled: 1-line block ×4, first 2 shown]
	s_nop 0
	global_load_dwordx4 v[66:69], v[74:75], off offset:1024
	global_load_dwordx4 v[70:73], v[74:75], off offset:2560
	v_or_b32_e32 v74, 0x6000, v53
	v_add_co_u32_e32 v82, vcc, v1, v74
	v_addc_co_u32_e32 v83, vcc, 0, v0, vcc
	s_movk_i32 s6, 0x6000
	v_add_co_u32_e32 v90, vcc, s6, v50
	v_addc_co_u32_e32 v91, vcc, 0, v51, vcc
	s_movk_i32 s6, 0x7000
	v_add_co_u32_e32 v98, vcc, s6, v50
	global_load_dwordx4 v[74:77], v[82:83], off
	global_load_dwordx4 v[78:81], v[90:91], off offset:1536
	v_addc_co_u32_e32 v99, vcc, 0, v51, vcc
	global_load_dwordx4 v[82:85], v[90:91], off offset:3072
	global_load_dwordx4 v[86:89], v[98:99], off offset:512
	v_or_b32_e32 v90, 0x7800, v53
	v_add_co_u32_e32 v100, vcc, v1, v90
	v_addc_co_u32_e32 v101, vcc, 0, v0, vcc
	s_mov_b32 s6, 0x8000
	v_add_co_u32_e32 v106, vcc, s6, v50
	v_addc_co_u32_e32 v107, vcc, 0, v51, vcc
	global_load_dwordx4 v[90:93], v[100:101], off
	global_load_dwordx4 v[94:97], v[98:99], off offset:3584
	s_nop 0
	global_load_dwordx4 v[98:101], v[106:107], off offset:1024
	global_load_dwordx4 v[102:105], v[106:107], off offset:2560
	v_or_b32_e32 v106, 0x9000, v53
	v_add_co_u32_e32 v114, vcc, v1, v106
	v_addc_co_u32_e32 v115, vcc, 0, v0, vcc
	s_mov_b32 s6, 0x9000
	v_add_co_u32_e32 v122, vcc, s6, v50
	v_addc_co_u32_e32 v123, vcc, 0, v51, vcc
	s_mov_b32 s6, 0xa000
	v_add_co_u32_e32 v50, vcc, s6, v50
	global_load_dwordx4 v[106:109], v[114:115], off
	global_load_dwordx4 v[110:113], v[122:123], off offset:1536
	v_addc_co_u32_e32 v51, vcc, 0, v51, vcc
	global_load_dwordx4 v[114:117], v[122:123], off offset:3072
	global_load_dwordx4 v[118:121], v[50:51], off offset:512
	v_or_b32_e32 v122, 0xa800, v53
	v_add_co_u32_e32 v122, vcc, v1, v122
	v_addc_co_u32_e32 v123, vcc, 0, v0, vcc
	global_load_dwordx4 v[122:125], v[122:123], off
	s_nop 0
	global_load_dwordx4 v[126:129], v[50:51], off offset:3584
	v_add_u32_e32 v50, 0, v53
	v_mov_b32_e32 v53, 0
	s_movk_i32 s6, 0x5f
	s_waitcnt vmcnt(29)
	ds_write_b128 v50, v[2:5]
	s_waitcnt vmcnt(28)
	ds_write_b128 v50, v[6:9] offset:1536
	s_waitcnt vmcnt(27)
	ds_write_b128 v50, v[10:13] offset:3072
	;; [unrolled: 2-line block ×5, first 2 shown]
	ds_write_b128 v50, v[14:17] offset:4608
	ds_write_b128 v50, v[22:25] offset:7680
	s_waitcnt vmcnt(19)
	ds_write_b128 v50, v[42:45] offset:9216
	s_waitcnt vmcnt(18)
	ds_write_b128 v50, v[46:49] offset:10752
	ds_write_b128 v50, v[30:33] offset:13824
	s_waitcnt vmcnt(17)
	ds_write_b128 v50, v[58:61] offset:15360
	s_waitcnt vmcnt(16)
	;; [unrolled: 5-line block ×3, first 2 shown]
	ds_write_b128 v50, v[70:73] offset:23040
	s_waitcnt vmcnt(13)
	ds_write_b128 v50, v[74:77] offset:24576
	s_waitcnt vmcnt(12)
	ds_write_b128 v50, v[78:81] offset:26112
	s_waitcnt vmcnt(11)
	ds_write_b128 v50, v[82:85] offset:27648
	s_waitcnt vmcnt(10)
	ds_write_b128 v50, v[86:89] offset:29184
	s_waitcnt vmcnt(9)
	ds_write_b128 v50, v[90:93] offset:30720
	s_waitcnt vmcnt(8)
	ds_write_b128 v50, v[94:97] offset:32256
	s_waitcnt vmcnt(7)
	ds_write_b128 v50, v[98:101] offset:33792
	s_waitcnt vmcnt(6)
	ds_write_b128 v50, v[102:105] offset:35328
	s_waitcnt vmcnt(5)
	ds_write_b128 v50, v[106:109] offset:36864
	v_mov_b32_e32 v4, v52
	v_cmp_eq_u32_e32 vcc, s6, v52
	v_mov_b32_e32 v5, v53
	s_waitcnt vmcnt(4)
	ds_write_b128 v50, v[110:113] offset:38400
	s_waitcnt vmcnt(3)
	ds_write_b128 v50, v[114:117] offset:39936
	;; [unrolled: 2-line block ×5, first 2 shown]
	s_and_saveexec_b64 s[6:7], vcc
	s_cbranch_execz .LBB0_14
; %bb.13:
	v_add_co_u32_e32 v1, vcc, 0xb000, v1
	v_addc_co_u32_e32 v2, vcc, 0, v0, vcc
	global_load_dwordx4 v[0:3], v[1:2], off offset:1024
	v_mov_b32_e32 v4, 0x5f
	v_mov_b32_e32 v5, 0
	;; [unrolled: 1-line block ×3, first 2 shown]
	s_waitcnt vmcnt(0)
	ds_write_b128 v53, v[0:3] offset:46080
.LBB0_14:
	s_or_b64 exec, exec, s[6:7]
.LBB0_15:
	s_or_b64 exec, exec, s[4:5]
	v_lshlrev_b32_e32 v0, 4, v52
	v_add_u32_e32 v73, 0, v0
	s_waitcnt lgkmcnt(0)
	s_barrier
	v_sub_u32_e32 v12, 0, v0
	ds_read_b64 v[6:7], v73
	ds_read_b64 v[8:9], v12 offset:46080
	s_add_u32 s6, s12, 0xb360
	v_lshlrev_b64 v[64:65], 4, v[4:5]
	s_addc_u32 s7, s13, 0
	v_cmp_ne_u32_e32 vcc, 0, v52
	s_waitcnt lgkmcnt(0)
	v_add_f64 v[0:1], v[6:7], v[8:9]
	v_add_f64 v[2:3], v[6:7], -v[8:9]
	s_and_saveexec_b64 s[4:5], vcc
	s_xor_b64 s[4:5], exec, s[4:5]
	s_cbranch_execz .LBB0_17
; %bb.16:
	v_mov_b32_e32 v1, s7
	v_add_co_u32_e32 v0, vcc, s6, v64
	v_addc_co_u32_e32 v1, vcc, v1, v65, vcc
	global_load_dwordx4 v[2:5], v[0:1], off
	ds_read_b64 v[0:1], v12 offset:46088
	ds_read_b64 v[10:11], v73 offset:8
	v_add_f64 v[13:14], v[6:7], v[8:9]
	v_add_f64 v[8:9], v[6:7], -v[8:9]
	s_waitcnt lgkmcnt(0)
	v_add_f64 v[6:7], v[0:1], v[10:11]
	v_add_f64 v[0:1], v[10:11], -v[0:1]
	s_waitcnt vmcnt(0)
	v_fma_f64 v[10:11], v[8:9], v[4:5], v[13:14]
	v_fma_f64 v[13:14], -v[8:9], v[4:5], v[13:14]
	v_fma_f64 v[15:16], v[6:7], v[4:5], -v[0:1]
	v_fma_f64 v[17:18], v[6:7], v[4:5], v[0:1]
	v_fma_f64 v[0:1], -v[6:7], v[2:3], v[10:11]
	v_fma_f64 v[4:5], v[6:7], v[2:3], v[13:14]
	v_fma_f64 v[6:7], v[8:9], v[2:3], v[15:16]
	;; [unrolled: 1-line block ×3, first 2 shown]
	ds_write_b128 v12, v[4:7] offset:46080
.LBB0_17:
	s_andn2_saveexec_b64 s[4:5], s[4:5]
	s_cbranch_execz .LBB0_19
; %bb.18:
	v_mov_b32_e32 v8, 0
	ds_read_b128 v[4:7], v8 offset:23040
	s_waitcnt lgkmcnt(0)
	v_add_f64 v[4:5], v[4:5], v[4:5]
	v_mul_f64 v[6:7], v[6:7], -2.0
	ds_write_b128 v8, v[4:7] offset:23040
.LBB0_19:
	s_or_b64 exec, exec, s[4:5]
	v_mov_b32_e32 v53, 0
	v_lshlrev_b64 v[66:67], 4, v[52:53]
	v_mov_b32_e32 v5, s7
	v_add_co_u32_e32 v4, vcc, s6, v66
	v_addc_co_u32_e32 v5, vcc, v5, v67, vcc
	global_load_dwordx4 v[6:9], v[4:5], off offset:1536
	global_load_dwordx4 v[13:16], v[4:5], off offset:3072
	s_movk_i32 s28, 0x1000
	ds_write_b128 v73, v[0:3]
	v_add_co_u32_e32 v25, vcc, s28, v4
	ds_read_b128 v[0:3], v73 offset:1536
	ds_read_b128 v[17:20], v12 offset:44544
	v_addc_co_u32_e32 v26, vcc, 0, v5, vcc
	global_load_dwordx4 v[21:24], v[25:26], off offset:512
	v_or_b32_e32 v71, 0x180, v52
	s_waitcnt lgkmcnt(0)
	v_add_f64 v[10:11], v[0:1], v[17:18]
	v_add_f64 v[27:28], v[19:20], v[2:3]
	v_add_f64 v[17:18], v[0:1], -v[17:18]
	v_add_f64 v[0:1], v[2:3], -v[19:20]
	v_mov_b32_e32 v72, v53
	v_lshlrev_b64 v[62:63], 4, v[71:72]
	s_movk_i32 s25, 0x2000
	v_or_b32_e32 v68, 0x300, v52
	v_mov_b32_e32 v69, v53
	v_lshlrev_b64 v[58:59], 4, v[68:69]
	s_movk_i32 s26, 0x3000
	s_movk_i32 s27, 0x4000
	v_or_b32_e32 v69, 0x480, v52
	v_mov_b32_e32 v70, v53
	v_lshlrev_b64 v[60:61], 4, v[69:70]
	s_movk_i32 s24, 0x5000
	s_mov_b32 s16, 0x134454ff
	s_mov_b32 s17, 0xbfee6f0e
	;; [unrolled: 1-line block ×14, first 2 shown]
	v_mul_u32_u24_e32 v70, 10, v52
	v_lshl_add_u32 v70, v70, 4, 0
	s_waitcnt vmcnt(2)
	v_fma_f64 v[2:3], v[17:18], v[8:9], v[10:11]
	v_fma_f64 v[19:20], v[27:28], v[8:9], v[0:1]
	v_fma_f64 v[10:11], -v[17:18], v[8:9], v[10:11]
	v_fma_f64 v[29:30], v[27:28], v[8:9], -v[0:1]
	v_fma_f64 v[0:1], -v[27:28], v[6:7], v[2:3]
	v_fma_f64 v[2:3], v[17:18], v[6:7], v[19:20]
	v_fma_f64 v[8:9], v[27:28], v[6:7], v[10:11]
	;; [unrolled: 1-line block ×3, first 2 shown]
	v_mov_b32_e32 v17, s7
	ds_write_b128 v73, v[0:3] offset:1536
	ds_write_b128 v12, v[8:11] offset:44544
	v_add_co_u32_e32 v10, vcc, s6, v62
	v_addc_co_u32_e32 v11, vcc, v17, v63, vcc
	ds_read_b128 v[0:3], v73 offset:3072
	ds_read_b128 v[6:9], v12 offset:43008
	global_load_dwordx4 v[17:20], v[10:11], off
	s_waitcnt lgkmcnt(0)
	v_add_f64 v[10:11], v[0:1], v[6:7]
	v_add_f64 v[27:28], v[8:9], v[2:3]
	v_add_f64 v[29:30], v[0:1], -v[6:7]
	v_add_f64 v[0:1], v[2:3], -v[8:9]
	s_waitcnt vmcnt(2)
	v_fma_f64 v[2:3], v[29:30], v[15:16], v[10:11]
	v_fma_f64 v[6:7], v[27:28], v[15:16], v[0:1]
	v_fma_f64 v[8:9], -v[29:30], v[15:16], v[10:11]
	v_fma_f64 v[10:11], v[27:28], v[15:16], -v[0:1]
	v_fma_f64 v[0:1], -v[27:28], v[13:14], v[2:3]
	v_fma_f64 v[2:3], v[29:30], v[13:14], v[6:7]
	v_fma_f64 v[6:7], v[27:28], v[13:14], v[8:9]
	;; [unrolled: 1-line block ×3, first 2 shown]
	ds_write_b128 v73, v[0:3] offset:3072
	ds_write_b128 v12, v[6:9] offset:43008
	ds_read_b128 v[0:3], v73 offset:4608
	ds_read_b128 v[6:9], v12 offset:41472
	global_load_dwordx4 v[13:16], v[25:26], off offset:3584
	s_waitcnt lgkmcnt(0)
	v_add_f64 v[10:11], v[0:1], v[6:7]
	v_add_f64 v[25:26], v[8:9], v[2:3]
	v_add_f64 v[27:28], v[0:1], -v[6:7]
	v_add_f64 v[0:1], v[2:3], -v[8:9]
	s_waitcnt vmcnt(2)
	v_fma_f64 v[2:3], v[27:28], v[23:24], v[10:11]
	v_fma_f64 v[6:7], v[25:26], v[23:24], v[0:1]
	v_fma_f64 v[8:9], -v[27:28], v[23:24], v[10:11]
	v_fma_f64 v[10:11], v[25:26], v[23:24], -v[0:1]
	v_fma_f64 v[0:1], -v[25:26], v[21:22], v[2:3]
	v_fma_f64 v[2:3], v[27:28], v[21:22], v[6:7]
	v_fma_f64 v[6:7], v[25:26], v[21:22], v[8:9]
	;; [unrolled: 1-line block ×3, first 2 shown]
	ds_write_b128 v73, v[0:3] offset:4608
	ds_write_b128 v12, v[6:9] offset:41472
	ds_read_b128 v[0:3], v73 offset:6144
	ds_read_b128 v[6:9], v12 offset:39936
	v_add_co_u32_e32 v10, vcc, s25, v4
	v_addc_co_u32_e32 v11, vcc, 0, v5, vcc
	global_load_dwordx4 v[21:24], v[10:11], off offset:1024
	s_waitcnt lgkmcnt(0)
	v_add_f64 v[25:26], v[0:1], v[6:7]
	v_add_f64 v[27:28], v[8:9], v[2:3]
	v_add_f64 v[29:30], v[0:1], -v[6:7]
	v_add_f64 v[0:1], v[2:3], -v[8:9]
	s_waitcnt vmcnt(2)
	v_fma_f64 v[2:3], v[29:30], v[19:20], v[25:26]
	v_fma_f64 v[6:7], v[27:28], v[19:20], v[0:1]
	v_fma_f64 v[8:9], -v[29:30], v[19:20], v[25:26]
	v_fma_f64 v[19:20], v[27:28], v[19:20], -v[0:1]
	v_fma_f64 v[0:1], -v[27:28], v[17:18], v[2:3]
	v_fma_f64 v[2:3], v[29:30], v[17:18], v[6:7]
	v_fma_f64 v[6:7], v[27:28], v[17:18], v[8:9]
	;; [unrolled: 1-line block ×3, first 2 shown]
	ds_write_b128 v73, v[0:3] offset:6144
	ds_write_b128 v12, v[6:9] offset:39936
	ds_read_b128 v[0:3], v73 offset:7680
	ds_read_b128 v[6:9], v12 offset:38400
	s_waitcnt lgkmcnt(0)
	v_add_f64 v[17:18], v[0:1], v[6:7]
	v_add_f64 v[19:20], v[8:9], v[2:3]
	v_add_f64 v[25:26], v[0:1], -v[6:7]
	v_add_f64 v[6:7], v[2:3], -v[8:9]
	global_load_dwordx4 v[0:3], v[10:11], off offset:2560
	s_waitcnt vmcnt(2)
	v_fma_f64 v[8:9], v[25:26], v[15:16], v[17:18]
	v_fma_f64 v[10:11], v[19:20], v[15:16], v[6:7]
	v_fma_f64 v[17:18], -v[25:26], v[15:16], v[17:18]
	v_fma_f64 v[27:28], v[19:20], v[15:16], -v[6:7]
	v_fma_f64 v[6:7], -v[19:20], v[13:14], v[8:9]
	v_fma_f64 v[8:9], v[25:26], v[13:14], v[10:11]
	v_fma_f64 v[15:16], v[19:20], v[13:14], v[17:18]
	;; [unrolled: 1-line block ×3, first 2 shown]
	v_mov_b32_e32 v11, s7
	v_add_co_u32_e32 v10, vcc, s6, v58
	ds_write_b128 v73, v[6:9] offset:7680
	ds_write_b128 v12, v[15:18] offset:38400
	v_addc_co_u32_e32 v11, vcc, v11, v59, vcc
	ds_read_b128 v[6:9], v73 offset:9216
	ds_read_b128 v[13:16], v12 offset:36864
	global_load_dwordx4 v[17:20], v[10:11], off
	s_waitcnt lgkmcnt(0)
	v_add_f64 v[10:11], v[6:7], v[13:14]
	v_add_f64 v[25:26], v[15:16], v[8:9]
	v_add_f64 v[27:28], v[6:7], -v[13:14]
	v_add_f64 v[6:7], v[8:9], -v[15:16]
	s_waitcnt vmcnt(2)
	v_fma_f64 v[8:9], v[27:28], v[23:24], v[10:11]
	v_fma_f64 v[13:14], v[25:26], v[23:24], v[6:7]
	v_fma_f64 v[10:11], -v[27:28], v[23:24], v[10:11]
	v_fma_f64 v[15:16], v[25:26], v[23:24], -v[6:7]
	v_fma_f64 v[6:7], -v[25:26], v[21:22], v[8:9]
	v_fma_f64 v[8:9], v[27:28], v[21:22], v[13:14]
	v_fma_f64 v[13:14], v[25:26], v[21:22], v[10:11]
	;; [unrolled: 1-line block ×3, first 2 shown]
	ds_write_b128 v73, v[6:9] offset:9216
	ds_write_b128 v12, v[13:16] offset:36864
	ds_read_b128 v[6:9], v73 offset:10752
	ds_read_b128 v[13:16], v12 offset:35328
	v_add_co_u32_e32 v10, vcc, s26, v4
	v_addc_co_u32_e32 v11, vcc, 0, v5, vcc
	global_load_dwordx4 v[21:24], v[10:11], off offset:1536
	s_waitcnt lgkmcnt(0)
	v_add_f64 v[25:26], v[6:7], v[13:14]
	v_add_f64 v[27:28], v[15:16], v[8:9]
	v_add_f64 v[29:30], v[6:7], -v[13:14]
	v_add_f64 v[6:7], v[8:9], -v[15:16]
	s_waitcnt vmcnt(2)
	v_fma_f64 v[8:9], v[29:30], v[2:3], v[25:26]
	v_fma_f64 v[13:14], v[27:28], v[2:3], v[6:7]
	v_fma_f64 v[15:16], -v[29:30], v[2:3], v[25:26]
	v_fma_f64 v[2:3], v[27:28], v[2:3], -v[6:7]
	v_fma_f64 v[6:7], -v[27:28], v[0:1], v[8:9]
	v_fma_f64 v[8:9], v[29:30], v[0:1], v[13:14]
	v_fma_f64 v[13:14], v[27:28], v[0:1], v[15:16]
	;; [unrolled: 1-line block ×3, first 2 shown]
	ds_write_b128 v73, v[6:9] offset:10752
	ds_write_b128 v12, v[13:16] offset:35328
	ds_read_b128 v[0:3], v73 offset:12288
	ds_read_b128 v[6:9], v12 offset:33792
	s_waitcnt lgkmcnt(0)
	v_add_f64 v[13:14], v[0:1], v[6:7]
	v_add_f64 v[15:16], v[8:9], v[2:3]
	v_add_f64 v[25:26], v[0:1], -v[6:7]
	v_add_f64 v[6:7], v[2:3], -v[8:9]
	global_load_dwordx4 v[0:3], v[10:11], off offset:3072
	s_waitcnt vmcnt(2)
	v_fma_f64 v[8:9], v[25:26], v[19:20], v[13:14]
	v_fma_f64 v[10:11], v[15:16], v[19:20], v[6:7]
	v_fma_f64 v[13:14], -v[25:26], v[19:20], v[13:14]
	v_fma_f64 v[19:20], v[15:16], v[19:20], -v[6:7]
	v_fma_f64 v[6:7], -v[15:16], v[17:18], v[8:9]
	v_fma_f64 v[8:9], v[25:26], v[17:18], v[10:11]
	v_fma_f64 v[13:14], v[15:16], v[17:18], v[13:14]
	v_fma_f64 v[15:16], v[25:26], v[17:18], v[19:20]
	v_add_co_u32_e32 v10, vcc, s27, v4
	ds_write_b128 v73, v[6:9] offset:12288
	ds_write_b128 v12, v[13:16] offset:33792
	v_addc_co_u32_e32 v11, vcc, 0, v5, vcc
	ds_read_b128 v[6:9], v73 offset:13824
	ds_read_b128 v[13:16], v12 offset:32256
	global_load_dwordx4 v[17:20], v[10:11], off offset:512
	s_waitcnt lgkmcnt(0)
	v_add_f64 v[25:26], v[6:7], v[13:14]
	v_add_f64 v[27:28], v[15:16], v[8:9]
	v_add_f64 v[29:30], v[6:7], -v[13:14]
	v_add_f64 v[6:7], v[8:9], -v[15:16]
	s_waitcnt vmcnt(2)
	v_fma_f64 v[8:9], v[29:30], v[23:24], v[25:26]
	v_fma_f64 v[13:14], v[27:28], v[23:24], v[6:7]
	v_fma_f64 v[15:16], -v[29:30], v[23:24], v[25:26]
	v_fma_f64 v[23:24], v[27:28], v[23:24], -v[6:7]
	v_fma_f64 v[6:7], -v[27:28], v[21:22], v[8:9]
	v_fma_f64 v[8:9], v[29:30], v[21:22], v[13:14]
	v_fma_f64 v[13:14], v[27:28], v[21:22], v[15:16]
	;; [unrolled: 1-line block ×3, first 2 shown]
	v_mov_b32_e32 v22, s7
	ds_write_b128 v73, v[6:9] offset:13824
	ds_write_b128 v12, v[13:16] offset:32256
	v_add_co_u32_e32 v21, vcc, s6, v60
	ds_read_b128 v[6:9], v73 offset:15360
	ds_read_b128 v[13:16], v12 offset:30720
	v_addc_co_u32_e32 v22, vcc, v22, v61, vcc
	global_load_dwordx4 v[21:24], v[21:22], off
	s_mov_b32 s7, 0x3fe2cf23
	s_waitcnt lgkmcnt(0)
	v_add_f64 v[25:26], v[6:7], v[13:14]
	v_add_f64 v[27:28], v[15:16], v[8:9]
	v_add_f64 v[29:30], v[6:7], -v[13:14]
	v_add_f64 v[6:7], v[8:9], -v[15:16]
	s_mov_b32 s6, s8
	s_waitcnt vmcnt(2)
	v_fma_f64 v[8:9], v[29:30], v[2:3], v[25:26]
	v_fma_f64 v[13:14], v[27:28], v[2:3], v[6:7]
	v_fma_f64 v[15:16], -v[29:30], v[2:3], v[25:26]
	v_fma_f64 v[2:3], v[27:28], v[2:3], -v[6:7]
	v_fma_f64 v[6:7], -v[27:28], v[0:1], v[8:9]
	v_fma_f64 v[8:9], v[29:30], v[0:1], v[13:14]
	v_fma_f64 v[13:14], v[27:28], v[0:1], v[15:16]
	v_fma_f64 v[15:16], v[29:30], v[0:1], v[2:3]
	ds_write_b128 v73, v[6:9] offset:15360
	ds_write_b128 v12, v[13:16] offset:30720
	ds_read_b128 v[0:3], v73 offset:16896
	ds_read_b128 v[6:9], v12 offset:29184
	global_load_dwordx4 v[13:16], v[10:11], off offset:3584
	s_waitcnt lgkmcnt(0)
	v_add_f64 v[10:11], v[0:1], v[6:7]
	v_add_f64 v[25:26], v[8:9], v[2:3]
	v_add_f64 v[27:28], v[0:1], -v[6:7]
	v_add_f64 v[0:1], v[2:3], -v[8:9]
	s_waitcnt vmcnt(2)
	v_fma_f64 v[2:3], v[27:28], v[19:20], v[10:11]
	v_fma_f64 v[6:7], v[25:26], v[19:20], v[0:1]
	v_fma_f64 v[8:9], -v[27:28], v[19:20], v[10:11]
	v_fma_f64 v[10:11], v[25:26], v[19:20], -v[0:1]
	v_fma_f64 v[0:1], -v[25:26], v[17:18], v[2:3]
	v_fma_f64 v[2:3], v[27:28], v[17:18], v[6:7]
	v_fma_f64 v[6:7], v[25:26], v[17:18], v[8:9]
	;; [unrolled: 1-line block ×3, first 2 shown]
	ds_write_b128 v73, v[0:3] offset:16896
	ds_write_b128 v12, v[6:9] offset:29184
	v_add_co_u32_e32 v0, vcc, s24, v4
	v_addc_co_u32_e32 v1, vcc, 0, v5, vcc
	ds_read_b128 v[6:9], v73 offset:18432
	ds_read_b128 v[17:20], v12 offset:27648
	global_load_dwordx4 v[0:3], v[0:1], off offset:1024
	v_cmp_gt_u32_e32 vcc, 60, v52
	s_waitcnt lgkmcnt(0)
	v_add_f64 v[4:5], v[6:7], v[17:18]
	v_add_f64 v[10:11], v[19:20], v[8:9]
	v_add_f64 v[17:18], v[6:7], -v[17:18]
	v_add_f64 v[6:7], v[8:9], -v[19:20]
	s_waitcnt vmcnt(2)
	v_fma_f64 v[8:9], v[17:18], v[23:24], v[4:5]
	v_fma_f64 v[19:20], v[10:11], v[23:24], v[6:7]
	v_fma_f64 v[25:26], -v[17:18], v[23:24], v[4:5]
	v_fma_f64 v[23:24], v[10:11], v[23:24], -v[6:7]
	v_fma_f64 v[4:5], -v[10:11], v[21:22], v[8:9]
	v_fma_f64 v[6:7], v[17:18], v[21:22], v[19:20]
	v_fma_f64 v[8:9], v[10:11], v[21:22], v[25:26]
	;; [unrolled: 1-line block ×3, first 2 shown]
	ds_write_b128 v73, v[4:7] offset:18432
	ds_write_b128 v12, v[8:11] offset:27648
	ds_read_b128 v[4:7], v73 offset:19968
	ds_read_b128 v[8:11], v12 offset:26112
	s_waitcnt lgkmcnt(0)
	v_add_f64 v[17:18], v[4:5], v[8:9]
	v_add_f64 v[19:20], v[10:11], v[6:7]
	v_add_f64 v[21:22], v[4:5], -v[8:9]
	v_add_f64 v[4:5], v[6:7], -v[10:11]
	s_waitcnt vmcnt(1)
	v_fma_f64 v[6:7], v[21:22], v[15:16], v[17:18]
	v_fma_f64 v[8:9], v[19:20], v[15:16], v[4:5]
	v_fma_f64 v[10:11], -v[21:22], v[15:16], v[17:18]
	v_fma_f64 v[15:16], v[19:20], v[15:16], -v[4:5]
	v_fma_f64 v[4:5], -v[19:20], v[13:14], v[6:7]
	v_fma_f64 v[6:7], v[21:22], v[13:14], v[8:9]
	v_fma_f64 v[8:9], v[19:20], v[13:14], v[10:11]
	;; [unrolled: 1-line block ×3, first 2 shown]
	ds_write_b128 v73, v[4:7] offset:19968
	ds_write_b128 v12, v[8:11] offset:26112
	ds_read_b128 v[13:16], v73 offset:21504
	ds_read_b128 v[17:20], v12 offset:24576
	s_waitcnt lgkmcnt(0)
	v_add_f64 v[8:9], v[13:14], v[17:18]
	v_add_f64 v[4:5], v[19:20], v[15:16]
	v_add_f64 v[6:7], v[13:14], -v[17:18]
	v_add_f64 v[10:11], v[15:16], -v[19:20]
	s_waitcnt vmcnt(0)
	v_fma_f64 v[13:14], v[6:7], v[2:3], v[8:9]
	v_fma_f64 v[15:16], v[4:5], v[2:3], v[10:11]
	v_fma_f64 v[17:18], -v[6:7], v[2:3], v[8:9]
	v_fma_f64 v[19:20], v[4:5], v[2:3], -v[10:11]
	v_fma_f64 v[8:9], -v[4:5], v[0:1], v[13:14]
	v_fma_f64 v[10:11], v[6:7], v[0:1], v[15:16]
	v_fma_f64 v[2:3], v[4:5], v[0:1], v[17:18]
	;; [unrolled: 1-line block ×3, first 2 shown]
	ds_write_b128 v73, v[8:11] offset:21504
	ds_write_b128 v12, v[2:5] offset:24576
	s_waitcnt lgkmcnt(0)
	s_barrier
	s_barrier
	ds_read_b128 v[4:7], v73 offset:18432
	ds_read_b128 v[12:15], v73 offset:19968
	;; [unrolled: 1-line block ×8, first 2 shown]
	ds_read_b128 v[40:43], v73
	ds_read_b128 v[44:47], v73 offset:1536
	ds_read_b128 v[48:51], v73 offset:4608
	;; [unrolled: 1-line block ×21, first 2 shown]
	s_waitcnt lgkmcnt(14)
	v_add_f64 v[142:143], v[4:5], v[16:17]
	v_add_f64 v[144:145], v[24:25], v[32:33]
	;; [unrolled: 1-line block ×6, first 2 shown]
	s_waitcnt lgkmcnt(13)
	v_add_f64 v[174:175], v[82:83], v[90:91]
	s_waitcnt lgkmcnt(11)
	v_add_f64 v[176:177], v[74:75], v[98:99]
	v_add_f64 v[178:179], v[84:85], v[92:93]
	;; [unrolled: 1-line block ×11, first 2 shown]
	s_waitcnt lgkmcnt(7)
	v_add_f64 v[240:241], v[106:107], v[110:111]
	v_add_f64 v[242:243], v[108:109], v[112:113]
	v_add_f64 v[154:155], v[26:27], -v[34:35]
	v_add_f64 v[156:157], v[24:25], -v[4:5]
	;; [unrolled: 1-line block ×21, first 2 shown]
	v_fma_f64 v[142:143], v[142:143], -0.5, v[40:41]
	v_fma_f64 v[40:41], v[144:145], -0.5, v[40:41]
	v_fma_f64 v[144:145], v[146:147], -0.5, v[42:43]
	v_fma_f64 v[42:43], v[148:149], -0.5, v[42:43]
	v_add_f64 v[4:5], v[150:151], v[4:5]
	v_add_f64 v[6:7], v[152:153], v[6:7]
	v_fma_f64 v[174:175], v[174:175], -0.5, v[48:49]
	v_fma_f64 v[48:49], v[176:177], -0.5, v[48:49]
	v_fma_f64 v[176:177], v[178:179], -0.5, v[50:51]
	v_fma_f64 v[50:51], v[180:181], -0.5, v[50:51]
	v_add_f64 v[82:83], v[182:183], v[82:83]
	v_add_f64 v[84:85], v[184:185], v[84:85]
	;; [unrolled: 6-line block ×3, first 2 shown]
	s_waitcnt lgkmcnt(5)
	v_add_f64 v[44:45], v[240:241], v[118:119]
	v_add_f64 v[46:47], v[242:243], v[120:121]
	v_add_f64 v[24:25], v[24:25], -v[32:33]
	v_add_f64 v[166:167], v[32:33], -v[16:17]
	;; [unrolled: 1-line block ×14, first 2 shown]
	s_waitcnt lgkmcnt(1)
	v_add_f64 v[28:29], v[110:111], v[134:135]
	v_add_f64 v[30:31], v[112:113], v[136:137]
	v_add_f64 v[252:253], v[22:23], -v[38:39]
	v_add_f64 v[146:147], v[118:119], v[126:127]
	v_add_f64 v[148:149], v[120:121], v[128:129]
	v_add_f64 v[150:151], v[120:121], -v[128:129]
	v_add_f64 v[152:153], v[118:119], -v[126:127]
	;; [unrolled: 1-line block ×6, first 2 shown]
	v_add_f64 v[4:5], v[4:5], v[16:17]
	v_add_f64 v[6:7], v[6:7], v[18:19]
	;; [unrolled: 1-line block ×8, first 2 shown]
	v_fma_f64 v[44:45], v[74:75], s[14:15], v[176:177]
	v_fma_f64 v[46:47], v[186:187], s[16:17], v[174:175]
	v_fma_f64 v[90:91], v[196:197], s[16:17], v[50:51]
	v_fma_f64 v[126:127], v[162:163], s[14:15], v[40:41]
	v_fma_f64 v[128:129], v[164:165], s[16:17], v[42:43]
	v_fma_f64 v[40:41], v[162:163], s[16:17], v[40:41]
	v_fma_f64 v[42:43], v[164:165], s[14:15], v[42:43]
	v_fma_f64 v[50:51], v[196:197], s[14:15], v[50:51]
	v_add_f64 v[244:245], v[112:113], -v[136:137]
	v_add_f64 v[246:247], v[110:111], -v[118:119]
	;; [unrolled: 1-line block ×5, first 2 shown]
	v_fma_f64 v[118:119], v[146:147], -0.5, v[106:107]
	v_fma_f64 v[106:107], v[28:29], -0.5, v[106:107]
	v_fma_f64 v[120:121], v[148:149], -0.5, v[108:109]
	v_fma_f64 v[108:109], v[30:31], -0.5, v[108:109]
	v_add_f64 v[146:147], v[156:157], v[166:167]
	v_add_f64 v[28:29], v[188:189], v[198:199]
	;; [unrolled: 1-line block ×5, first 2 shown]
	v_fma_f64 v[84:85], v[24:25], s[14:15], v[144:145]
	v_fma_f64 v[92:93], v[194:195], s[14:15], v[48:49]
	;; [unrolled: 1-line block ×5, first 2 shown]
	v_add_f64 v[4:5], v[4:5], v[32:33]
	v_add_f64 v[6:7], v[6:7], v[34:35]
	;; [unrolled: 1-line block ×8, first 2 shown]
	v_fma_f64 v[44:45], v[196:197], s[6:7], v[44:45]
	v_fma_f64 v[46:47], v[194:195], s[8:9], v[46:47]
	;; [unrolled: 1-line block ×7, first 2 shown]
	v_add_f64 v[110:111], v[110:111], -v[134:135]
	v_add_f64 v[148:149], v[160:161], v[170:171]
	v_add_f64 v[26:27], v[26:27], v[172:173]
	;; [unrolled: 1-line block ×3, first 2 shown]
	v_fma_f64 v[82:83], v[154:155], s[16:17], v[142:143]
	v_fma_f64 v[170:171], v[186:187], s[14:15], v[174:175]
	;; [unrolled: 1-line block ×6, first 2 shown]
	v_add_f64 v[12:13], v[4:5], v[16:17]
	v_add_f64 v[14:15], v[6:7], v[18:19]
	v_add_f64 v[16:17], v[4:5], -v[16:17]
	v_add_f64 v[18:19], v[6:7], -v[18:19]
	v_add_f64 v[20:21], v[32:33], v[36:37]
	v_add_f64 v[22:23], v[34:35], v[38:39]
	v_add_f64 v[4:5], v[32:33], -v[36:37]
	v_add_f64 v[6:7], v[34:35], -v[38:39]
	v_fma_f64 v[32:33], v[30:31], s[4:5], v[44:45]
	v_fma_f64 v[34:35], v[28:29], s[4:5], v[46:47]
	;; [unrolled: 1-line block ×14, first 2 shown]
	v_mul_f64 v[24:25], v[32:33], s[8:9]
	v_mul_f64 v[26:27], v[34:35], s[6:7]
	v_fma_f64 v[42:43], v[158:159], s[4:5], v[48:49]
	v_fma_f64 v[48:49], v[30:31], s[4:5], v[50:51]
	v_mul_f64 v[30:31], v[44:45], s[16:17]
	v_mul_f64 v[44:45], v[44:45], s[4:5]
	;; [unrolled: 1-line block ×4, first 2 shown]
	v_add_f64 v[160:161], v[246:247], v[178:179]
	v_add_f64 v[166:167], v[250:251], v[182:183]
	v_fma_f64 v[134:135], v[152:153], s[6:7], v[172:173]
	v_fma_f64 v[136:137], v[150:151], s[8:9], v[174:175]
	v_fma_f64 v[36:37], v[146:147], s[4:5], v[82:83]
	v_fma_f64 v[82:83], v[156:157], s[4:5], v[98:99]
	v_fma_f64 v[34:35], v[34:35], s[22:23], v[24:25]
	v_fma_f64 v[32:33], v[32:33], s[22:23], v[26:27]
	v_fma_f64 v[92:93], v[28:29], s[4:5], v[128:129]
	v_mul_f64 v[98:99], v[48:49], s[8:9]
	v_fma_f64 v[100:101], v[46:47], s[4:5], v[30:31]
	v_fma_f64 v[44:45], v[46:47], s[14:15], v[44:45]
	;; [unrolled: 1-line block ×4, first 2 shown]
	v_mul_f64 v[48:49], v[48:49], s[20:21]
	v_fma_f64 v[142:143], v[154:155], s[14:15], v[142:143]
	v_fma_f64 v[126:127], v[164:165], s[8:9], v[144:145]
	v_add_f64 v[24:25], v[36:37], v[34:35]
	v_add_f64 v[26:27], v[38:39], v[32:33]
	v_add_f64 v[28:29], v[36:37], -v[34:35]
	v_add_f64 v[30:31], v[38:39], -v[32:33]
	v_add_f64 v[32:33], v[82:83], v[100:101]
	v_add_f64 v[34:35], v[84:85], v[44:45]
	v_add_f64 v[36:37], v[82:83], -v[100:101]
	v_add_f64 v[38:39], v[84:85], -v[44:45]
	v_add_f64 v[40:41], v[90:91], v[46:47]
	v_add_f64 v[42:43], v[76:77], v[50:51]
	v_add_f64 v[44:45], v[90:91], -v[46:47]
	v_add_f64 v[46:47], v[76:77], -v[50:51]
	v_fma_f64 v[82:83], v[92:93], s[20:21], v[98:99]
	v_fma_f64 v[50:51], v[166:167], s[4:5], v[134:135]
	;; [unrolled: 1-line block ×9, first 2 shown]
	v_add_f64 v[126:127], v[220:221], v[234:235]
	v_add_f64 v[128:129], v[226:227], v[238:239]
	v_mul_f64 v[100:101], v[50:51], s[8:9]
	v_mul_f64 v[134:135], v[84:85], s[6:7]
	v_fma_f64 v[90:91], v[230:231], s[8:9], v[90:91]
	v_fma_f64 v[98:99], v[232:233], s[6:7], v[98:99]
	v_add_f64 v[112:113], v[112:113], v[184:185]
	v_fma_f64 v[136:137], v[150:151], s[14:15], v[106:107]
	v_fma_f64 v[142:143], v[110:111], s[6:7], v[48:49]
	;; [unrolled: 1-line block ×7, first 2 shown]
	v_add_f64 v[144:145], v[248:249], v[180:181]
	v_fma_f64 v[136:137], v[244:245], s[8:9], v[136:137]
	v_fma_f64 v[142:143], v[112:113], s[4:5], v[142:143]
	v_add_f64 v[48:49], v[74:75], v[82:83]
	v_add_f64 v[50:51], v[76:77], v[92:93]
	v_add_f64 v[74:75], v[74:75], -v[82:83]
	v_add_f64 v[76:77], v[76:77], -v[92:93]
	v_add_f64 v[82:83], v[90:91], v[100:101]
	v_add_f64 v[84:85], v[98:99], v[134:135]
	v_add_f64 v[90:91], v[90:91], -v[100:101]
	v_fma_f64 v[100:101], v[144:145], s[4:5], v[136:137]
	v_mul_f64 v[136:137], v[142:143], s[16:17]
	v_add_f64 v[92:93], v[98:99], -v[134:135]
	v_fma_f64 v[98:99], v[230:231], s[14:15], v[208:209]
	v_mul_f64 v[142:143], v[142:143], s[4:5]
	v_fma_f64 v[108:109], v[152:153], s[14:15], v[108:109]
	v_add_f64 v[146:147], v[222:223], v[236:237]
	v_fma_f64 v[154:155], v[232:233], s[16:17], v[212:213]
	v_fma_f64 v[106:107], v[150:151], s[16:17], v[106:107]
	;; [unrolled: 1-line block ×8, first 2 shown]
	v_add_f64 v[148:149], v[228:229], v[252:253]
	v_fma_f64 v[110:111], v[232:233], s[14:15], v[212:213]
	v_fma_f64 v[120:121], v[224:225], s[6:7], v[154:155]
	;; [unrolled: 1-line block ×15, first 2 shown]
	v_mul_f64 v[144:145], v[108:109], s[16:17]
	v_mul_f64 v[108:109], v[108:109], s[18:19]
	v_fma_f64 v[134:135], v[146:147], s[4:5], v[134:135]
	v_fma_f64 v[146:147], v[148:149], s[4:5], v[110:111]
	;; [unrolled: 1-line block ×5, first 2 shown]
	v_mul_f64 v[148:149], v[100:101], s[8:9]
	v_mul_f64 v[150:151], v[100:101], s[20:21]
	v_fma_f64 v[144:145], v[106:107], s[18:19], v[144:145]
	v_fma_f64 v[152:153], v[106:107], s[14:15], v[108:109]
	v_add_f64 v[98:99], v[154:155], v[136:137]
	v_add_f64 v[100:101], v[112:113], v[142:143]
	v_add_f64 v[106:107], v[154:155], -v[136:137]
	v_add_f64 v[108:109], v[112:113], -v[142:143]
	v_add_f64 v[142:143], v[0:1], v[78:79]
	v_add_f64 v[154:155], v[2:3], v[80:81]
	v_fma_f64 v[156:157], v[126:127], s[4:5], v[110:111]
	v_fma_f64 v[158:159], v[128:129], s[4:5], v[118:119]
	;; [unrolled: 1-line block ×4, first 2 shown]
	v_add_f64 v[110:111], v[134:135], v[144:145]
	v_add_f64 v[118:119], v[134:135], -v[144:145]
	v_add_f64 v[142:143], v[142:143], v[86:87]
	v_add_f64 v[144:145], v[154:155], v[88:89]
	;; [unrolled: 1-line block ×3, first 2 shown]
	v_add_f64 v[120:121], v[146:147], -v[152:153]
	v_add_f64 v[126:127], v[156:157], v[148:149]
	v_add_f64 v[128:129], v[158:159], v[150:151]
	v_add_f64 v[134:135], v[156:157], -v[148:149]
	v_add_f64 v[136:137], v[158:159], -v[150:151]
	v_add_f64 v[146:147], v[86:87], v[94:95]
	v_add_f64 v[148:149], v[88:89], -v[96:97]
	v_add_f64 v[150:151], v[78:79], -v[86:87]
	;; [unrolled: 1-line block ×3, first 2 shown]
	v_add_f64 v[154:155], v[88:89], v[96:97]
	v_add_f64 v[156:157], v[86:87], -v[94:95]
	v_add_f64 v[86:87], v[80:81], -v[88:89]
	;; [unrolled: 1-line block ×4, first 2 shown]
	v_add_f64 v[160:161], v[78:79], v[102:103]
	v_add_f64 v[162:163], v[78:79], -v[102:103]
	v_add_f64 v[78:79], v[80:81], v[104:105]
	v_add_f64 v[80:81], v[142:143], v[94:95]
	;; [unrolled: 1-line block ×5, first 2 shown]
	v_add_f64 v[166:167], v[102:103], -v[94:95]
	v_add_f64 v[94:95], v[94:95], -v[102:103]
	v_add_f64 v[168:169], v[104:105], -v[96:97]
	v_add_f64 v[96:97], v[96:97], -v[104:105]
	v_add_f64 v[80:81], v[80:81], v[102:103]
	v_add_f64 v[102:103], v[142:143], v[104:105]
	;; [unrolled: 1-line block ×6, first 2 shown]
	s_waitcnt lgkmcnt(0)
	v_add_f64 v[178:179], v[116:117], -v[140:141]
	v_add_f64 v[180:181], v[114:115], -v[138:139]
	;; [unrolled: 1-line block ×4, first 2 shown]
	v_add_f64 v[104:105], v[104:105], v[130:131]
	v_add_f64 v[142:143], v[142:143], v[132:133]
	v_fma_f64 v[144:145], v[144:145], -0.5, v[8:9]
	v_fma_f64 v[170:171], v[170:171], -0.5, v[10:11]
	v_add_f64 v[174:175], v[122:123], -v[114:115]
	v_add_f64 v[122:123], v[122:123], -v[130:131]
	;; [unrolled: 1-line block ×4, first 2 shown]
	v_add_f64 v[114:115], v[114:115], v[138:139]
	v_add_f64 v[116:117], v[116:117], v[140:141]
	v_add_f64 v[182:183], v[138:139], -v[130:131]
	v_add_f64 v[184:185], v[140:141], -v[132:133]
	v_fma_f64 v[186:187], v[180:181], s[14:15], v[170:171]
	v_add_f64 v[130:131], v[130:131], -v[138:139]
	v_add_f64 v[132:133], v[132:133], -v[140:141]
	v_add_f64 v[104:105], v[104:105], v[138:139]
	v_add_f64 v[138:139], v[142:143], v[140:141]
	v_fma_f64 v[140:141], v[178:179], s[16:17], v[144:145]
	v_fma_f64 v[142:143], v[146:147], -0.5, v[0:1]
	v_add_f64 v[146:147], v[176:177], v[184:185]
	v_fma_f64 v[176:177], v[122:123], s[6:7], v[186:187]
	v_fma_f64 v[116:117], v[116:117], -0.5, v[10:11]
	v_add_f64 v[172:173], v[172:173], v[182:183]
	v_fma_f64 v[160:161], v[160:161], -0.5, v[0:1]
	v_fma_f64 v[114:115], v[114:115], -0.5, v[8:9]
	v_fma_f64 v[10:11], v[164:165], s[8:9], v[140:141]
	v_fma_f64 v[140:141], v[78:79], -0.5, v[2:3]
	v_add_f64 v[0:1], v[80:81], v[104:105]
	v_fma_f64 v[78:79], v[146:147], s[4:5], v[176:177]
	v_add_f64 v[8:9], v[80:81], -v[104:105]
	v_fma_f64 v[104:105], v[158:159], s[16:17], v[142:143]
	v_add_f64 v[150:151], v[150:151], v[166:167]
	v_add_f64 v[168:169], v[86:87], v[168:169]
	v_fma_f64 v[10:11], v[172:173], s[4:5], v[10:11]
	v_fma_f64 v[80:81], v[122:123], s[16:17], v[116:117]
	;; [unrolled: 1-line block ×3, first 2 shown]
	v_mul_f64 v[166:167], v[78:79], s[8:9]
	v_fma_f64 v[154:155], v[154:155], -0.5, v[2:3]
	v_fma_f64 v[104:105], v[148:149], s[8:9], v[104:105]
	v_add_f64 v[124:125], v[124:125], v[132:133]
	v_fma_f64 v[132:133], v[164:165], s[14:15], v[114:115]
	v_mul_f64 v[182:183], v[10:11], s[6:7]
	v_fma_f64 v[80:81], v[180:181], s[6:7], v[80:81]
	v_fma_f64 v[114:115], v[164:165], s[16:17], v[114:115]
	;; [unrolled: 1-line block ×9, first 2 shown]
	v_add_f64 v[182:183], v[88:89], v[96:97]
	v_add_f64 v[130:131], v[174:175], v[130:131]
	v_fma_f64 v[132:133], v[178:179], s[8:9], v[132:133]
	v_fma_f64 v[80:81], v[124:125], s[4:5], v[80:81]
	;; [unrolled: 1-line block ×6, first 2 shown]
	v_add_f64 v[78:79], v[104:105], v[86:87]
	v_add_f64 v[86:87], v[104:105], -v[86:87]
	v_fma_f64 v[104:105], v[180:181], s[16:17], v[170:171]
	v_fma_f64 v[116:117], v[124:125], s[4:5], v[116:117]
	;; [unrolled: 1-line block ×4, first 2 shown]
	v_add_f64 v[152:153], v[152:153], v[94:95]
	v_fma_f64 v[94:95], v[130:131], s[4:5], v[132:133]
	v_mul_f64 v[132:133], v[80:81], s[16:17]
	v_mul_f64 v[88:89], v[80:81], s[4:5]
	v_fma_f64 v[104:105], v[122:123], s[8:9], v[104:105]
	v_fma_f64 v[122:123], v[156:157], s[14:15], v[140:141]
	;; [unrolled: 1-line block ×7, first 2 shown]
	v_mul_f64 v[130:131], v[116:117], s[16:17]
	v_fma_f64 v[104:105], v[146:147], s[4:5], v[104:105]
	v_fma_f64 v[122:123], v[162:163], s[8:9], v[122:123]
	v_mul_f64 v[116:117], v[116:117], s[18:19]
	v_fma_f64 v[140:141], v[148:149], s[6:7], v[140:141]
	v_fma_f64 v[142:143], v[156:157], s[8:9], v[142:143]
	v_fma_f64 v[144:145], v[172:173], s[4:5], v[144:145]
	v_add_f64 v[2:3], v[102:103], v[138:139]
	v_fma_f64 v[176:177], v[168:169], s[4:5], v[10:11]
	v_mul_f64 v[146:147], v[104:105], s[8:9]
	v_mul_f64 v[104:105], v[104:105], s[20:21]
	v_add_f64 v[10:11], v[102:103], -v[138:139]
	v_fma_f64 v[102:103], v[94:95], s[4:5], v[132:133]
	v_fma_f64 v[132:133], v[94:95], s[14:15], v[88:89]
	;; [unrolled: 1-line block ×12, first 2 shown]
	s_movk_i32 s4, 0xcd
	v_add_f64 v[80:81], v[176:177], v[166:167]
	v_add_f64 v[88:89], v[176:177], -v[166:167]
	v_add_f64 v[94:95], v[138:139], v[102:103]
	v_add_f64 v[96:97], v[174:175], v[132:133]
	v_add_f64 v[102:103], v[138:139], -v[102:103]
	v_add_f64 v[104:105], v[174:175], -v[132:133]
	v_add_f64 v[114:115], v[124:125], v[122:123]
	v_add_f64 v[116:117], v[148:149], v[130:131]
	v_add_f64 v[122:123], v[124:125], -v[122:123]
	;; [unrolled: 4-line block ×3, first 2 shown]
	v_add_f64 v[140:141], v[142:143], -v[144:145]
	s_barrier
	ds_write_b128 v70, v[12:15]
	ds_write_b128 v70, v[24:27] offset:16
	ds_write_b128 v70, v[32:35] offset:32
	;; [unrolled: 1-line block ×29, first 2 shown]
	v_mul_lo_u16_sdwa v0, v52, s4 dst_sel:DWORD dst_unused:UNUSED_PAD src0_sel:BYTE_0 src1_sel:DWORD
	v_lshrrev_b16_e32 v72, 11, v0
	v_mul_lo_u16_e32 v0, 10, v72
	v_sub_u16_e32 v81, v52, v0
	v_mov_b32_e32 v74, 5
	v_mul_u32_u24_sdwa v0, v81, v74 dst_sel:DWORD dst_unused:UNUSED_PAD src0_sel:BYTE_0 src1_sel:DWORD
	v_lshlrev_b32_e32 v20, 4, v0
	s_waitcnt lgkmcnt(0)
	s_barrier
	global_load_dwordx4 v[8:11], v20, s[12:13]
	global_load_dwordx4 v[12:15], v20, s[12:13] offset:16
	global_load_dwordx4 v[0:3], v20, s[12:13] offset:32
	;; [unrolled: 1-line block ×4, first 2 shown]
	v_add_u16_e32 v76, 0x60, v52
	v_mul_lo_u16_sdwa v20, v76, s4 dst_sel:DWORD dst_unused:UNUSED_PAD src0_sel:BYTE_0 src1_sel:DWORD
	v_lshrrev_b16_e32 v79, 11, v20
	v_mul_lo_u16_e32 v20, 10, v79
	v_sub_u16_e32 v80, v76, v20
	v_mul_u32_u24_sdwa v20, v80, v74 dst_sel:DWORD dst_unused:UNUSED_PAD src0_sel:BYTE_0 src1_sel:DWORD
	v_lshlrev_b32_e32 v40, 4, v20
	global_load_dwordx4 v[20:23], v40, s[12:13]
	global_load_dwordx4 v[24:27], v40, s[12:13] offset:16
	global_load_dwordx4 v[28:31], v40, s[12:13] offset:32
	;; [unrolled: 1-line block ×4, first 2 shown]
	s_mov_b32 s4, 0xcccd
	v_add_u32_e32 v75, 0xc0, v52
	v_mul_u32_u24_sdwa v40, v75, s4 dst_sel:DWORD dst_unused:UNUSED_PAD src0_sel:WORD_0 src1_sel:DWORD
	v_lshrrev_b32_e32 v77, 19, v40
	v_mul_lo_u16_e32 v40, 10, v77
	v_sub_u16_e32 v78, v75, v40
	v_mul_u32_u24_e32 v40, 5, v78
	v_lshlrev_b32_e32 v82, 4, v40
	ds_read_b128 v[44:47], v73 offset:7680
	ds_read_b128 v[40:43], v73 offset:15360
	;; [unrolled: 1-line block ×3, first 2 shown]
	global_load_dwordx4 v[83:86], v82, s[12:13]
	global_load_dwordx4 v[87:90], v82, s[12:13] offset:16
	global_load_dwordx4 v[99:102], v82, s[12:13] offset:32
	v_add_u32_e32 v70, 0x120, v52
	ds_read_b128 v[95:98], v73 offset:23040
	ds_read_b128 v[91:94], v73 offset:16896
	;; [unrolled: 1-line block ×4, first 2 shown]
	s_mov_b32 s6, 0xe8584caa
	s_mov_b32 s7, 0xbfebb67a
	;; [unrolled: 1-line block ×3, first 2 shown]
	s_movk_i32 s8, 0x89
	s_waitcnt vmcnt(12) lgkmcnt(6)
	v_mul_f64 v[103:104], v[46:47], v[10:11]
	v_mul_f64 v[10:11], v[44:45], v[10:11]
	s_waitcnt vmcnt(11) lgkmcnt(5)
	v_mul_f64 v[107:108], v[42:43], v[14:15]
	v_mul_f64 v[14:15], v[40:41], v[14:15]
	;; [unrolled: 3-line block ×3, first 2 shown]
	v_fma_f64 v[155:156], v[44:45], v[8:9], v[103:104]
	v_fma_f64 v[157:158], v[46:47], v[8:9], -v[10:11]
	global_load_dwordx4 v[44:47], v82, s[12:13] offset:48
	v_mul_u32_u24_sdwa v8, v70, s4 dst_sel:DWORD dst_unused:UNUSED_PAD src0_sel:WORD_0 src1_sel:DWORD
	v_lshrrev_b32_e32 v8, 19, v8
	v_mul_lo_u16_e32 v9, 10, v8
	v_sub_u16_e32 v9, v70, v9
	v_fma_f64 v[161:162], v[42:43], v[12:13], -v[14:15]
	v_mul_u32_u24_e32 v14, 5, v9
	v_fma_f64 v[159:160], v[40:41], v[12:13], v[107:108]
	global_load_dwordx4 v[10:13], v82, s[12:13] offset:64
	v_lshlrev_b32_e32 v82, 4, v14
	global_load_dwordx4 v[40:43], v82, s[12:13]
	global_load_dwordx4 v[111:114], v82, s[12:13] offset:16
	ds_read_b128 v[107:110], v73 offset:30720
	v_mul_f64 v[119:120], v[97:98], v[2:3]
	v_mul_f64 v[2:3], v[95:96], v[2:3]
	global_load_dwordx4 v[123:126], v82, s[12:13] offset:32
	ds_read_b128 v[103:106], v73 offset:21504
	s_waitcnt lgkmcnt(1)
	v_mul_f64 v[14:15], v[109:110], v[6:7]
	v_mul_f64 v[147:148], v[107:108], v[6:7]
	v_mul_u32_u24_sdwa v6, v71, s4 dst_sel:DWORD dst_unused:UNUSED_PAD src0_sel:WORD_0 src1_sel:DWORD
	v_lshrrev_b32_e32 v6, 19, v6
	v_fma_f64 v[163:164], v[95:96], v[0:1], v[119:120]
	ds_read_b128 v[119:122], v73 offset:32256
	global_load_dwordx4 v[131:134], v82, s[12:13] offset:48
	global_load_dwordx4 v[135:138], v82, s[12:13] offset:64
	ds_read_b128 v[139:142], v73 offset:9216
	v_mul_lo_u16_e32 v7, 10, v6
	v_sub_u16_e32 v7, v71, v7
	v_mul_u32_u24_e32 v82, 5, v7
	v_lshlrev_b32_e32 v82, 4, v82
	global_load_dwordx4 v[143:146], v82, s[12:13]
	v_fma_f64 v[165:166], v[97:98], v[0:1], -v[2:3]
	global_load_dwordx4 v[95:98], v82, s[12:13] offset:16
	ds_read_b128 v[0:3], v73 offset:10752
	s_waitcnt vmcnt(16) lgkmcnt(1)
	v_mul_f64 v[151:152], v[141:142], v[22:23]
	v_mul_f64 v[22:23], v[139:140], v[22:23]
	v_fma_f64 v[167:168], v[107:108], v[4:5], v[14:15]
	v_fma_f64 v[169:170], v[115:116], v[16:17], v[149:150]
	v_fma_f64 v[171:172], v[117:118], v[16:17], -v[18:19]
	global_load_dwordx4 v[14:17], v82, s[12:13] offset:32
	global_load_dwordx4 v[115:118], v82, s[12:13] offset:64
	s_waitcnt vmcnt(15)
	v_mul_f64 v[179:180], v[121:122], v[34:35]
	v_fma_f64 v[173:174], v[139:140], v[20:21], v[151:152]
	v_fma_f64 v[175:176], v[141:142], v[20:21], -v[22:23]
	global_load_dwordx4 v[18:21], v82, s[12:13] offset:48
	v_mul_f64 v[34:35], v[119:120], v[34:35]
	v_fma_f64 v[4:5], v[109:110], v[4:5], -v[147:148]
	ds_read_b128 v[107:110], v73 offset:24576
	ds_read_b128 v[139:142], v73 offset:26112
	v_mul_f64 v[22:23], v[93:94], v[26:27]
	v_mul_f64 v[26:27], v[91:92], v[26:27]
	ds_read_b128 v[147:150], v73 offset:39936
	ds_read_b128 v[151:154], v73 offset:41472
	s_waitcnt lgkmcnt(3)
	v_mul_f64 v[177:178], v[109:110], v[30:31]
	v_mul_f64 v[30:31], v[107:108], v[30:31]
	v_fma_f64 v[121:122], v[121:122], v[32:33], -v[34:35]
	s_waitcnt vmcnt(14)
	v_mul_f64 v[34:35], v[2:3], v[85:86]
	s_waitcnt lgkmcnt(1)
	v_mul_f64 v[181:182], v[149:150], v[38:39]
	v_fma_f64 v[93:94], v[93:94], v[24:25], -v[26:27]
	v_mul_f64 v[26:27], v[147:148], v[38:39]
	v_mul_f64 v[38:39], v[0:1], v[85:86]
	v_fma_f64 v[91:92], v[91:92], v[24:25], v[22:23]
	v_fma_f64 v[109:110], v[109:110], v[28:29], -v[30:31]
	v_fma_f64 v[119:120], v[119:120], v[32:33], v[179:180]
	ds_read_b128 v[22:25], v73 offset:18432
	ds_read_b128 v[30:33], v73 offset:33792
	v_fma_f64 v[179:180], v[0:1], v[83:84], v[34:35]
	s_waitcnt vmcnt(12)
	v_mul_f64 v[0:1], v[139:140], v[101:102]
	v_fma_f64 v[107:108], v[107:108], v[28:29], v[177:178]
	v_fma_f64 v[147:148], v[147:148], v[36:37], v[181:182]
	v_fma_f64 v[149:150], v[149:150], v[36:37], -v[26:27]
	ds_read_b128 v[34:37], v73 offset:35328
	ds_read_b128 v[26:29], v73 offset:19968
	s_waitcnt lgkmcnt(3)
	v_mul_f64 v[85:86], v[24:25], v[89:90]
	v_mul_f64 v[89:90], v[22:23], v[89:90]
	v_mul_f64 v[177:178], v[141:142], v[101:102]
	v_fma_f64 v[82:83], v[2:3], v[83:84], -v[38:39]
	s_mov_b32 s4, s6
	s_waitcnt vmcnt(11) lgkmcnt(2)
	v_mul_f64 v[101:102], v[32:33], v[46:47]
	v_mul_f64 v[38:39], v[30:31], v[46:47]
	v_fma_f64 v[46:47], v[141:142], v[99:100], -v[0:1]
	ds_read_b128 v[0:3], v73 offset:12288
	v_fma_f64 v[84:85], v[22:23], v[87:88], v[85:86]
	v_fma_f64 v[86:87], v[24:25], v[87:88], -v[89:90]
	ds_read_b128 v[22:25], v73 offset:13824
	v_fma_f64 v[88:89], v[139:140], v[99:100], v[177:178]
	v_fma_f64 v[99:100], v[30:31], v[44:45], v[101:102]
	s_waitcnt vmcnt(10)
	v_mul_f64 v[101:102], v[153:154], v[12:13]
	v_mul_f64 v[12:13], v[151:152], v[12:13]
	v_fma_f64 v[141:142], v[32:33], v[44:45], -v[38:39]
	s_waitcnt vmcnt(9) lgkmcnt(1)
	v_mul_f64 v[38:39], v[0:1], v[42:43]
	v_mul_f64 v[139:140], v[2:3], v[42:43]
	ds_read_b128 v[30:33], v73 offset:27648
	s_waitcnt vmcnt(8)
	v_mul_f64 v[42:43], v[28:29], v[113:114]
	v_mul_f64 v[44:45], v[26:27], v[113:114]
	v_fma_f64 v[101:102], v[151:152], v[10:11], v[101:102]
	v_fma_f64 v[113:114], v[153:154], v[10:11], -v[12:13]
	ds_read_b128 v[10:13], v73 offset:29184
	s_waitcnt vmcnt(7) lgkmcnt(1)
	v_mul_f64 v[151:152], v[32:33], v[125:126]
	v_fma_f64 v[153:154], v[2:3], v[40:41], -v[38:39]
	v_mul_f64 v[38:39], v[30:31], v[125:126]
	v_fma_f64 v[139:140], v[0:1], v[40:41], v[139:140]
	ds_read_b128 v[0:3], v73 offset:43008
	v_fma_f64 v[177:178], v[26:27], v[111:112], v[42:43]
	v_fma_f64 v[111:112], v[28:29], v[111:112], -v[44:45]
	ds_read_b128 v[26:29], v73 offset:44544
	s_waitcnt vmcnt(6)
	v_mul_f64 v[40:41], v[36:37], v[133:134]
	v_mul_f64 v[42:43], v[34:35], v[133:134]
	v_fma_f64 v[125:126], v[30:31], v[123:124], v[151:152]
	s_waitcnt vmcnt(5) lgkmcnt(1)
	v_mul_f64 v[30:31], v[2:3], v[137:138]
	v_mul_f64 v[44:45], v[0:1], v[137:138]
	s_waitcnt vmcnt(4)
	v_mul_f64 v[133:134], v[24:25], v[145:146]
	v_fma_f64 v[123:124], v[32:33], v[123:124], -v[38:39]
	v_mul_f64 v[32:33], v[22:23], v[145:146]
	v_fma_f64 v[137:138], v[34:35], v[131:132], v[40:41]
	s_waitcnt vmcnt(3)
	v_mul_f64 v[34:35], v[105:106], v[97:98]
	v_fma_f64 v[131:132], v[36:37], v[131:132], -v[42:43]
	v_fma_f64 v[145:146], v[0:1], v[135:136], v[30:31]
	v_fma_f64 v[135:136], v[2:3], v[135:136], -v[44:45]
	v_fma_f64 v[133:134], v[22:23], v[143:144], v[133:134]
	v_mul_f64 v[2:3], v[103:104], v[97:98]
	s_waitcnt vmcnt(2)
	v_mul_f64 v[22:23], v[12:13], v[16:17]
	v_fma_f64 v[97:98], v[24:25], v[143:144], -v[32:33]
	s_waitcnt vmcnt(0)
	v_mul_f64 v[24:25], v[129:130], v[20:21]
	v_mul_f64 v[20:21], v[127:128], v[20:21]
	v_fma_f64 v[0:1], v[103:104], v[95:96], v[34:35]
	s_waitcnt lgkmcnt(0)
	v_mul_f64 v[30:31], v[28:29], v[117:118]
	v_mul_f64 v[16:17], v[10:11], v[16:17]
	v_fma_f64 v[2:3], v[105:106], v[95:96], -v[2:3]
	v_fma_f64 v[95:96], v[10:11], v[14:15], v[22:23]
	v_mul_f64 v[22:23], v[26:27], v[117:118]
	v_fma_f64 v[105:106], v[127:128], v[18:19], v[24:25]
	v_fma_f64 v[117:118], v[129:130], v[18:19], -v[20:21]
	v_add_f64 v[20:21], v[165:166], v[171:172]
	v_fma_f64 v[127:128], v[26:27], v[115:116], v[30:31]
	v_add_f64 v[26:27], v[163:164], v[169:170]
	v_add_f64 v[32:33], v[163:164], -v[169:170]
	v_fma_f64 v[103:104], v[12:13], v[14:15], -v[16:17]
	ds_read_b128 v[10:13], v73
	ds_read_b128 v[14:17], v73 offset:1536
	v_add_f64 v[24:25], v[159:160], v[167:168]
	v_fma_f64 v[20:21], v[20:21], -0.5, v[157:158]
	v_add_f64 v[38:39], v[165:166], -v[171:172]
	s_waitcnt lgkmcnt(1)
	v_add_f64 v[30:31], v[12:13], v[161:162]
	v_fma_f64 v[26:27], v[26:27], -0.5, v[155:156]
	v_fma_f64 v[115:116], v[28:29], v[115:116], -v[22:23]
	v_add_f64 v[28:29], v[161:162], v[4:5]
	v_add_f64 v[34:35], v[157:158], v[165:166]
	v_fma_f64 v[24:25], v[24:25], -0.5, v[10:11]
	v_fma_f64 v[36:37], v[32:33], s[4:5], v[20:21]
	v_fma_f64 v[20:21], v[32:33], s[6:7], v[20:21]
	v_add_f64 v[30:31], v[30:31], v[4:5]
	v_fma_f64 v[40:41], v[38:39], s[6:7], v[26:27]
	v_add_f64 v[4:5], v[161:162], -v[4:5]
	v_fma_f64 v[26:27], v[38:39], s[4:5], v[26:27]
	v_add_f64 v[18:19], v[10:11], v[159:160]
	v_add_f64 v[22:23], v[155:156], v[163:164]
	v_mul_f64 v[32:33], v[36:37], s[6:7]
	v_mul_f64 v[36:37], v[36:37], 0.5
	v_mul_f64 v[38:39], v[20:21], s[6:7]
	v_fma_f64 v[28:29], v[28:29], -0.5, v[12:13]
	v_add_f64 v[42:43], v[159:160], -v[167:168]
	v_mul_f64 v[20:21], v[20:21], -0.5
	v_add_f64 v[34:35], v[34:35], v[171:172]
	v_add_f64 v[18:19], v[18:19], v[167:168]
	v_fma_f64 v[32:33], v[40:41], 0.5, v[32:33]
	v_fma_f64 v[36:37], v[40:41], s[4:5], v[36:37]
	v_fma_f64 v[40:41], v[4:5], s[6:7], v[24:25]
	;; [unrolled: 1-line block ×3, first 2 shown]
	v_fma_f64 v[38:39], v[26:27], -0.5, v[38:39]
	v_add_f64 v[22:23], v[22:23], v[169:170]
	v_fma_f64 v[44:45], v[42:43], s[4:5], v[28:29]
	v_fma_f64 v[42:43], v[42:43], s[6:7], v[28:29]
	;; [unrolled: 1-line block ×3, first 2 shown]
	v_add_f64 v[12:13], v[30:31], v[34:35]
	v_add_f64 v[20:21], v[30:31], -v[34:35]
	v_add_f64 v[26:27], v[40:41], -v[32:33]
	v_add_f64 v[30:31], v[4:5], v[38:39]
	v_add_f64 v[34:35], v[4:5], -v[38:39]
	v_mul_u32_u24_e32 v4, 0x3c0, v72
	v_mov_b32_e32 v72, 4
	v_lshlrev_b32_sdwa v5, v72, v81 dst_sel:DWORD dst_unused:UNUSED_PAD src0_sel:DWORD src1_sel:BYTE_0
	v_add_f64 v[10:11], v[18:19], v[22:23]
	v_add_f64 v[18:19], v[18:19], -v[22:23]
	v_add_f64 v[22:23], v[40:41], v[32:33]
	v_add_f64 v[24:25], v[44:45], v[36:37]
	v_add3_u32 v81, 0, v4, v5
	v_add_f64 v[4:5], v[109:110], v[149:150]
	v_add_f64 v[32:33], v[42:43], v[129:130]
	v_add_f64 v[28:29], v[44:45], -v[36:37]
	v_add_f64 v[36:37], v[42:43], -v[129:130]
	ds_read_b128 v[38:41], v73 offset:3072
	ds_read_b128 v[42:45], v73 offset:4608
	s_waitcnt lgkmcnt(0)
	s_barrier
	ds_write_b128 v81, v[10:13]
	ds_write_b128 v81, v[22:25] offset:160
	ds_write_b128 v81, v[30:33] offset:320
	;; [unrolled: 1-line block ×5, first 2 shown]
	v_add_f64 v[12:13], v[173:174], v[107:108]
	v_fma_f64 v[4:5], v[4:5], -0.5, v[175:176]
	v_add_f64 v[18:19], v[107:108], v[147:148]
	v_add_f64 v[20:21], v[107:108], -v[147:148]
	v_add_f64 v[10:11], v[14:15], v[91:92]
	v_add_f64 v[22:23], v[91:92], v[119:120]
	;; [unrolled: 1-line block ×5, first 2 shown]
	v_add_f64 v[32:33], v[109:110], -v[149:150]
	v_fma_f64 v[18:19], v[18:19], -0.5, v[173:174]
	v_fma_f64 v[12:13], v[20:21], s[4:5], v[4:5]
	v_fma_f64 v[4:5], v[20:21], s[6:7], v[4:5]
	v_add_f64 v[28:29], v[10:11], v[119:120]
	v_add_f64 v[10:11], v[175:176], v[109:110]
	v_fma_f64 v[14:15], v[22:23], -0.5, v[14:15]
	v_fma_f64 v[16:17], v[24:25], -0.5, v[16:17]
	v_add_f64 v[22:23], v[26:27], v[121:122]
	v_fma_f64 v[26:27], v[32:33], s[6:7], v[18:19]
	v_mul_f64 v[20:21], v[12:13], s[6:7]
	v_mul_f64 v[34:35], v[12:13], 0.5
	v_add_f64 v[36:37], v[93:94], -v[121:122]
	v_add_f64 v[90:91], v[91:92], -v[119:120]
	v_fma_f64 v[18:19], v[32:33], s[4:5], v[18:19]
	v_mul_f64 v[32:33], v[4:5], s[6:7]
	v_mul_f64 v[4:5], v[4:5], -0.5
	v_add_f64 v[24:25], v[10:11], v[149:150]
	v_fma_f64 v[92:93], v[26:27], 0.5, v[20:21]
	v_fma_f64 v[26:27], v[26:27], s[4:5], v[34:35]
	v_fma_f64 v[34:35], v[36:37], s[6:7], v[14:15]
	;; [unrolled: 1-line block ×5, first 2 shown]
	v_fma_f64 v[32:33], v[18:19], -0.5, v[32:33]
	v_fma_f64 v[4:5], v[18:19], s[4:5], v[4:5]
	v_add_f64 v[10:11], v[28:29], v[30:31]
	v_add_f64 v[12:13], v[22:23], v[24:25]
	v_add_f64 v[14:15], v[28:29], -v[30:31]
	v_add_f64 v[16:17], v[22:23], -v[24:25]
	v_add_f64 v[20:21], v[107:108], v[26:27]
	v_add_f64 v[24:25], v[107:108], -v[26:27]
	v_add_f64 v[26:27], v[36:37], v[32:33]
	v_add_f64 v[28:29], v[90:91], v[4:5]
	v_add_f64 v[30:31], v[36:37], -v[32:33]
	v_add_f64 v[32:33], v[90:91], -v[4:5]
	v_mul_u32_u24_e32 v4, 0x3c0, v79
	v_lshlrev_b32_sdwa v5, v72, v80 dst_sel:DWORD dst_unused:UNUSED_PAD src0_sel:DWORD src1_sel:BYTE_0
	v_add_f64 v[18:19], v[34:35], v[92:93]
	v_add_f64 v[22:23], v[34:35], -v[92:93]
	v_add3_u32 v34, 0, v4, v5
	v_add_f64 v[4:5], v[46:47], v[113:114]
	ds_write_b128 v34, v[10:13]
	ds_write_b128 v34, v[18:21] offset:160
	ds_write_b128 v34, v[26:29] offset:320
	;; [unrolled: 1-line block ×5, first 2 shown]
	v_add_f64 v[12:13], v[179:180], v[88:89]
	v_add_f64 v[14:15], v[88:89], v[101:102]
	v_fma_f64 v[4:5], v[4:5], -0.5, v[82:83]
	v_add_f64 v[16:17], v[88:89], -v[101:102]
	v_add_f64 v[18:19], v[84:85], v[99:100]
	v_add_f64 v[20:21], v[86:87], v[141:142]
	v_add_f64 v[28:29], v[46:47], -v[113:114]
	v_add_f64 v[10:11], v[38:39], v[84:85]
	v_add_f64 v[26:27], v[12:13], v[101:102]
	v_fma_f64 v[14:15], v[14:15], -0.5, v[179:180]
	v_add_f64 v[22:23], v[40:41], v[86:87]
	v_fma_f64 v[12:13], v[16:17], s[4:5], v[4:5]
	v_fma_f64 v[4:5], v[16:17], s[6:7], v[4:5]
	v_fma_f64 v[18:19], v[18:19], -0.5, v[38:39]
	v_fma_f64 v[20:21], v[20:21], -0.5, v[40:41]
	v_add_f64 v[38:39], v[84:85], -v[99:100]
	v_add_f64 v[24:25], v[10:11], v[99:100]
	v_fma_f64 v[32:33], v[28:29], s[6:7], v[14:15]
	v_fma_f64 v[14:15], v[28:29], s[4:5], v[14:15]
	v_mul_f64 v[16:17], v[12:13], s[6:7]
	v_mul_f64 v[34:35], v[12:13], 0.5
	v_mul_f64 v[28:29], v[4:5], s[6:7]
	v_mul_f64 v[4:5], v[4:5], -0.5
	v_add_f64 v[10:11], v[82:83], v[46:47]
	v_add_f64 v[36:37], v[86:87], -v[141:142]
	v_fma_f64 v[46:47], v[38:39], s[4:5], v[20:21]
	v_fma_f64 v[38:39], v[38:39], s[6:7], v[20:21]
	v_fma_f64 v[40:41], v[32:33], 0.5, v[16:17]
	v_fma_f64 v[32:33], v[32:33], s[4:5], v[34:35]
	v_add_f64 v[22:23], v[22:23], v[141:142]
	v_fma_f64 v[4:5], v[14:15], s[4:5], v[4:5]
	v_add_f64 v[30:31], v[10:11], v[113:114]
	v_fma_f64 v[34:35], v[36:37], s[6:7], v[18:19]
	v_fma_f64 v[36:37], v[36:37], s[4:5], v[18:19]
	v_fma_f64 v[79:80], v[14:15], -0.5, v[28:29]
	v_add_f64 v[10:11], v[24:25], v[26:27]
	v_add_f64 v[14:15], v[24:25], -v[26:27]
	v_add_f64 v[20:21], v[46:47], v[32:33]
	v_add_f64 v[24:25], v[46:47], -v[32:33]
	;; [unrolled: 2-line block ×3, first 2 shown]
	v_mul_u32_u24_e32 v4, 0x3c0, v77
	v_lshlrev_b32_e32 v5, 4, v78
	v_add_f64 v[12:13], v[22:23], v[30:31]
	v_add_f64 v[16:17], v[22:23], -v[30:31]
	v_add_f64 v[18:19], v[34:35], v[40:41]
	v_add_f64 v[22:23], v[34:35], -v[40:41]
	v_add3_u32 v34, 0, v4, v5
	v_add_f64 v[4:5], v[123:124], v[135:136]
	v_add_f64 v[26:27], v[36:37], v[79:80]
	v_add_f64 v[30:31], v[36:37], -v[79:80]
	ds_write_b128 v34, v[10:13]
	ds_write_b128 v34, v[18:21] offset:160
	ds_write_b128 v34, v[26:29] offset:320
	;; [unrolled: 1-line block ×5, first 2 shown]
	v_add_f64 v[12:13], v[139:140], v[125:126]
	v_fma_f64 v[4:5], v[4:5], -0.5, v[153:154]
	v_add_f64 v[14:15], v[125:126], v[145:146]
	v_add_f64 v[16:17], v[125:126], -v[145:146]
	v_add_f64 v[20:21], v[111:112], v[131:132]
	v_add_f64 v[28:29], v[123:124], -v[135:136]
	v_add_f64 v[10:11], v[42:43], v[177:178]
	v_add_f64 v[18:19], v[177:178], v[137:138]
	;; [unrolled: 1-line block ×3, first 2 shown]
	v_add_f64 v[38:39], v[177:178], -v[137:138]
	v_fma_f64 v[14:15], v[14:15], -0.5, v[139:140]
	v_fma_f64 v[12:13], v[16:17], s[4:5], v[4:5]
	v_fma_f64 v[4:5], v[16:17], s[6:7], v[4:5]
	v_fma_f64 v[20:21], v[20:21], -0.5, v[44:45]
	v_add_f64 v[22:23], v[44:45], v[111:112]
	v_add_f64 v[24:25], v[10:11], v[137:138]
	;; [unrolled: 1-line block ×3, first 2 shown]
	v_fma_f64 v[18:19], v[18:19], -0.5, v[42:43]
	v_fma_f64 v[32:33], v[28:29], s[6:7], v[14:15]
	v_mul_f64 v[16:17], v[12:13], s[6:7]
	v_mul_f64 v[34:35], v[12:13], 0.5
	v_fma_f64 v[14:15], v[28:29], s[4:5], v[14:15]
	v_mul_f64 v[28:29], v[4:5], s[6:7]
	v_mul_f64 v[4:5], v[4:5], -0.5
	v_add_f64 v[36:37], v[111:112], -v[131:132]
	v_fma_f64 v[42:43], v[38:39], s[4:5], v[20:21]
	v_fma_f64 v[38:39], v[38:39], s[6:7], v[20:21]
	v_fma_f64 v[40:41], v[32:33], 0.5, v[16:17]
	v_fma_f64 v[32:33], v[32:33], s[4:5], v[34:35]
	v_add_f64 v[22:23], v[22:23], v[131:132]
	v_add_f64 v[30:31], v[10:11], v[135:136]
	v_fma_f64 v[4:5], v[14:15], s[4:5], v[4:5]
	v_fma_f64 v[34:35], v[36:37], s[6:7], v[18:19]
	;; [unrolled: 1-line block ×3, first 2 shown]
	v_fma_f64 v[44:45], v[14:15], -0.5, v[28:29]
	v_add_f64 v[10:11], v[24:25], v[26:27]
	v_add_f64 v[14:15], v[24:25], -v[26:27]
	v_add_f64 v[20:21], v[42:43], v[32:33]
	v_add_f64 v[24:25], v[42:43], -v[32:33]
	v_add_f64 v[28:29], v[38:39], v[4:5]
	v_add_f64 v[32:33], v[38:39], -v[4:5]
	v_mul_u32_u24_e32 v4, 0x3c0, v8
	v_lshlrev_b32_e32 v5, 4, v9
	v_add_f64 v[12:13], v[22:23], v[30:31]
	v_add_f64 v[18:19], v[34:35], v[40:41]
	v_add3_u32 v8, 0, v4, v5
	v_add_f64 v[4:5], v[103:104], v[115:116]
	v_add_f64 v[26:27], v[36:37], v[44:45]
	v_add_f64 v[16:17], v[22:23], -v[30:31]
	v_add_f64 v[22:23], v[34:35], -v[40:41]
	;; [unrolled: 1-line block ×3, first 2 shown]
	ds_write_b128 v8, v[10:13]
	ds_write_b128 v8, v[18:21] offset:160
	ds_write_b128 v8, v[26:29] offset:320
	;; [unrolled: 1-line block ×5, first 2 shown]
	v_add_f64 v[10:11], v[133:134], v[95:96]
	v_fma_f64 v[4:5], v[4:5], -0.5, v[97:98]
	v_add_f64 v[12:13], v[95:96], v[127:128]
	v_add_f64 v[14:15], v[95:96], -v[127:128]
	v_add_f64 v[8:9], v[48:49], v[0:1]
	v_add_f64 v[16:17], v[0:1], v[105:106]
	;; [unrolled: 1-line block ×3, first 2 shown]
	v_add_f64 v[26:27], v[103:104], -v[115:116]
	v_add_f64 v[24:25], v[10:11], v[127:128]
	v_add_f64 v[20:21], v[50:51], v[2:3]
	v_fma_f64 v[12:13], v[12:13], -0.5, v[133:134]
	v_fma_f64 v[10:11], v[14:15], s[4:5], v[4:5]
	v_fma_f64 v[4:5], v[14:15], s[6:7], v[4:5]
	v_add_f64 v[22:23], v[8:9], v[105:106]
	v_add_f64 v[8:9], v[97:98], v[103:104]
	v_fma_f64 v[16:17], v[16:17], -0.5, v[48:49]
	v_fma_f64 v[18:19], v[18:19], -0.5, v[50:51]
	v_add_f64 v[2:3], v[2:3], -v[117:118]
	v_fma_f64 v[30:31], v[26:27], s[6:7], v[12:13]
	v_mul_f64 v[14:15], v[10:11], s[6:7]
	v_mul_f64 v[32:33], v[10:11], 0.5
	v_add_f64 v[0:1], v[0:1], -v[105:106]
	v_fma_f64 v[12:13], v[26:27], s[4:5], v[12:13]
	v_mul_f64 v[26:27], v[4:5], s[6:7]
	v_mul_f64 v[4:5], v[4:5], -0.5
	v_add_f64 v[20:21], v[20:21], v[117:118]
	v_add_f64 v[28:29], v[8:9], v[115:116]
	v_fma_f64 v[34:35], v[30:31], 0.5, v[14:15]
	v_fma_f64 v[30:31], v[30:31], s[4:5], v[32:33]
	v_fma_f64 v[32:33], v[2:3], s[6:7], v[16:17]
	;; [unrolled: 1-line block ×5, first 2 shown]
	v_fma_f64 v[26:27], v[12:13], -0.5, v[26:27]
	v_fma_f64 v[4:5], v[12:13], s[4:5], v[4:5]
	v_add_f64 v[8:9], v[22:23], v[24:25]
	v_add_f64 v[10:11], v[20:21], v[28:29]
	;; [unrolled: 1-line block ×4, first 2 shown]
	v_add_f64 v[0:1], v[22:23], -v[24:25]
	v_add_f64 v[2:3], v[20:21], -v[28:29]
	v_add_f64 v[20:21], v[38:39], v[26:27]
	v_add_f64 v[22:23], v[40:41], v[4:5]
	v_add_f64 v[16:17], v[32:33], -v[34:35]
	v_add_f64 v[18:19], v[36:37], -v[30:31]
	;; [unrolled: 1-line block ×4, first 2 shown]
	v_mul_u32_u24_e32 v4, 0x3c0, v6
	v_lshlrev_b32_e32 v5, 4, v7
	v_add3_u32 v4, 0, v4, v5
	ds_write_b128 v4, v[8:11]
	ds_write_b128 v4, v[12:15] offset:160
	ds_write_b128 v4, v[20:23] offset:320
	;; [unrolled: 1-line block ×5, first 2 shown]
	v_subrev_u32_e32 v0, 60, v52
	v_cndmask_b32_e32 v77, v0, v52, vcc
	v_mul_i32_i24_e32 v0, 5, v77
	v_mov_b32_e32 v1, v53
	v_lshlrev_b64 v[0:1], 4, v[0:1]
	v_mov_b32_e32 v48, s13
	v_add_co_u32_e32 v20, vcc, s12, v0
	v_addc_co_u32_e32 v21, vcc, v48, v1, vcc
	s_waitcnt lgkmcnt(0)
	s_barrier
	global_load_dwordx4 v[8:11], v[20:21], off offset:800
	global_load_dwordx4 v[12:15], v[20:21], off offset:816
	;; [unrolled: 1-line block ×5, first 2 shown]
	v_mul_lo_u16_sdwa v20, v76, s8 dst_sel:DWORD dst_unused:UNUSED_PAD src0_sel:BYTE_0 src1_sel:DWORD
	v_lshrrev_b16_e32 v50, 13, v20
	v_mul_lo_u16_e32 v20, 60, v50
	v_sub_u16_e32 v51, v76, v20
	v_mul_u32_u24_sdwa v20, v51, v74 dst_sel:DWORD dst_unused:UNUSED_PAD src0_sel:BYTE_0 src1_sel:DWORD
	v_lshlrev_b32_e32 v40, 4, v20
	global_load_dwordx4 v[20:23], v40, s[12:13] offset:800
	global_load_dwordx4 v[24:27], v40, s[12:13] offset:816
	;; [unrolled: 1-line block ×5, first 2 shown]
	s_mov_b32 s8, 0x8889
	v_mul_u32_u24_sdwa v40, v75, s8 dst_sel:DWORD dst_unused:UNUSED_PAD src0_sel:WORD_0 src1_sel:DWORD
	v_lshrrev_b32_e32 v49, 21, v40
	ds_read_b128 v[40:43], v73 offset:7680
	v_mul_lo_u16_e32 v44, 60, v49
	v_sub_u16_e32 v74, v75, v44
	v_mul_u32_u24_e32 v44, 5, v74
	v_lshlrev_b32_e32 v75, 4, v44
	ds_read_b128 v[44:47], v73 offset:6144
	global_load_dwordx4 v[78:81], v75, s[12:13] offset:800
	ds_read_b128 v[82:85], v73 offset:15360
	global_load_dwordx4 v[86:89], v75, s[12:13] offset:816
	global_load_dwordx4 v[90:93], v75, s[12:13] offset:832
	ds_read_b128 v[94:97], v73 offset:16896
	ds_read_b128 v[98:101], v73 offset:23040
	v_cmp_lt_u32_e32 vcc, 59, v52
	s_waitcnt vmcnt(12) lgkmcnt(4)
	v_mul_f64 v[102:103], v[42:43], v[10:11]
	v_mul_f64 v[10:11], v[40:41], v[10:11]
	s_waitcnt vmcnt(11) lgkmcnt(2)
	v_mul_f64 v[106:107], v[84:85], v[14:15]
	v_mul_f64 v[14:15], v[82:83], v[14:15]
	;; [unrolled: 3-line block ×3, first 2 shown]
	v_fma_f64 v[154:155], v[40:41], v[8:9], v[102:103]
	global_load_dwordx4 v[102:105], v75, s[12:13] offset:848
	v_fma_f64 v[156:157], v[42:43], v[8:9], -v[10:11]
	v_mul_u32_u24_sdwa v8, v70, s8 dst_sel:DWORD dst_unused:UNUSED_PAD src0_sel:WORD_0 src1_sel:DWORD
	v_lshrrev_b32_e32 v8, 21, v8
	v_mul_lo_u16_e32 v9, 60, v8
	v_sub_u16_e32 v9, v70, v9
	v_mul_u32_u24_e32 v10, 5, v9
	v_lshlrev_b32_e32 v142, 4, v10
	ds_read_b128 v[40:43], v73 offset:21504
	v_fma_f64 v[158:159], v[82:83], v[12:13], v[106:107]
	global_load_dwordx4 v[106:109], v75, s[12:13] offset:864
	global_load_dwordx4 v[110:113], v142, s[12:13] offset:800
	;; [unrolled: 1-line block ×4, first 2 shown]
	v_fma_f64 v[75:76], v[84:85], v[12:13], -v[14:15]
	ds_read_b128 v[10:13], v73 offset:38400
	ds_read_b128 v[118:121], v73 offset:30720
	;; [unrolled: 1-line block ×3, first 2 shown]
	v_fma_f64 v[160:161], v[98:99], v[0:1], v[122:123]
	ds_read_b128 v[122:125], v73 offset:36864
	s_waitcnt vmcnt(13) lgkmcnt(3)
	v_mul_f64 v[152:153], v[12:13], v[18:19]
	v_mul_f64 v[18:19], v[10:11], v[18:19]
	ds_read_b128 v[130:133], v73 offset:9216
	ds_read_b128 v[134:137], v73 offset:10752
	global_load_dwordx4 v[138:141], v142, s[12:13] offset:848
	s_nop 0
	global_load_dwordx4 v[142:145], v142, s[12:13] offset:864
	s_waitcnt lgkmcnt(4)
	v_mul_f64 v[14:15], v[120:121], v[6:7]
	v_mul_f64 v[150:151], v[118:119], v[6:7]
	v_mul_u32_u24_sdwa v6, v71, s8 dst_sel:DWORD dst_unused:UNUSED_PAD src0_sel:WORD_0 src1_sel:DWORD
	v_lshrrev_b32_e32 v6, 21, v6
	v_mul_lo_u16_e32 v7, 60, v6
	v_sub_u16_e32 v7, v71, v7
	v_mul_u32_u24_e32 v71, 5, v7
	v_lshlrev_b32_e32 v71, 4, v71
	global_load_dwordx4 v[146:149], v71, s[12:13] offset:800
	s_waitcnt vmcnt(15) lgkmcnt(1)
	v_mul_f64 v[162:163], v[132:133], v[22:23]
	v_fma_f64 v[164:165], v[100:101], v[0:1], -v[2:3]
	global_load_dwordx4 v[98:101], v71, s[12:13] offset:816
	v_mul_f64 v[22:23], v[130:131], v[22:23]
	v_fma_f64 v[168:169], v[10:11], v[16:17], v[152:153]
	v_fma_f64 v[170:171], v[12:13], v[16:17], -v[18:19]
	global_load_dwordx4 v[10:13], v71, s[12:13] offset:832
	v_fma_f64 v[166:167], v[118:119], v[4:5], v[14:15]
	global_load_dwordx4 v[14:17], v71, s[12:13] offset:848
	v_fma_f64 v[162:163], v[130:131], v[20:21], v[162:163]
	ds_read_b128 v[0:3], v73 offset:24576
	v_fma_f64 v[172:173], v[132:133], v[20:21], -v[22:23]
	global_load_dwordx4 v[18:21], v71, s[12:13] offset:864
	v_fma_f64 v[4:5], v[120:121], v[4:5], -v[150:151]
	ds_read_b128 v[118:121], v73 offset:26112
	s_waitcnt vmcnt(18)
	v_mul_f64 v[150:151], v[96:97], v[26:27]
	v_mul_f64 v[22:23], v[94:95], v[26:27]
	s_waitcnt vmcnt(17) lgkmcnt(1)
	v_mul_f64 v[26:27], v[2:3], v[30:31]
	v_mul_f64 v[30:31], v[0:1], v[30:31]
	ds_read_b128 v[130:133], v73 offset:39936
	s_waitcnt vmcnt(16)
	v_mul_f64 v[174:175], v[84:85], v[38:39]
	v_mul_f64 v[38:39], v[82:83], v[38:39]
	v_fma_f64 v[94:95], v[94:95], v[24:25], v[150:151]
	ds_read_b128 v[150:153], v73 offset:41472
	v_fma_f64 v[178:179], v[0:1], v[28:29], v[26:27]
	s_waitcnt vmcnt(15) lgkmcnt(1)
	v_mul_f64 v[26:27], v[130:131], v[34:35]
	v_fma_f64 v[180:181], v[2:3], v[28:29], -v[30:31]
	ds_read_b128 v[0:3], v73 offset:18432
	v_mul_f64 v[176:177], v[132:133], v[34:35]
	s_waitcnt vmcnt(14)
	v_mul_f64 v[30:31], v[136:137], v[80:81]
	v_mul_f64 v[34:35], v[134:135], v[80:81]
	v_fma_f64 v[96:97], v[96:97], v[24:25], -v[22:23]
	ds_read_b128 v[22:25], v73 offset:19968
	v_fma_f64 v[82:83], v[82:83], v[36:37], v[174:175]
	v_fma_f64 v[84:85], v[84:85], v[36:37], -v[38:39]
	s_waitcnt vmcnt(13) lgkmcnt(1)
	v_mul_f64 v[36:37], v[2:3], v[88:89]
	v_fma_f64 v[132:133], v[132:133], v[32:33], -v[26:27]
	v_mul_f64 v[38:39], v[0:1], v[88:89]
	ds_read_b128 v[26:29], v73 offset:33792
	v_fma_f64 v[130:131], v[130:131], v[32:33], v[176:177]
	s_waitcnt vmcnt(12)
	v_mul_f64 v[80:81], v[120:121], v[92:93]
	v_mul_f64 v[88:89], v[118:119], v[92:93]
	v_fma_f64 v[92:93], v[134:135], v[78:79], v[30:31]
	ds_read_b128 v[30:33], v73 offset:35328
	v_fma_f64 v[134:135], v[136:137], v[78:79], -v[34:35]
	v_fma_f64 v[136:137], v[0:1], v[86:87], v[36:37]
	v_fma_f64 v[86:87], v[2:3], v[86:87], -v[38:39]
	s_waitcnt vmcnt(11) lgkmcnt(1)
	v_mul_f64 v[34:35], v[28:29], v[104:105]
	v_mul_f64 v[38:39], v[26:27], v[104:105]
	ds_read_b128 v[0:3], v73 offset:12288
	v_fma_f64 v[118:119], v[118:119], v[90:91], v[80:81]
	v_fma_f64 v[88:89], v[120:121], v[90:91], -v[88:89]
	v_fma_f64 v[90:91], v[26:27], v[102:103], v[34:35]
	ds_read_b128 v[34:37], v73 offset:13824
	s_waitcnt vmcnt(10)
	v_mul_f64 v[78:79], v[152:153], v[108:109]
	v_mul_f64 v[80:81], v[150:151], v[108:109]
	s_waitcnt vmcnt(9) lgkmcnt(1)
	v_mul_f64 v[104:105], v[2:3], v[112:113]
	v_mul_f64 v[108:109], v[0:1], v[112:113]
	s_waitcnt vmcnt(8)
	v_mul_f64 v[112:113], v[24:25], v[116:117]
	v_fma_f64 v[102:103], v[28:29], v[102:103], -v[38:39]
	ds_read_b128 v[26:29], v73 offset:27648
	v_mul_f64 v[38:39], v[22:23], v[116:117]
	v_fma_f64 v[120:121], v[150:151], v[106:107], v[78:79]
	v_fma_f64 v[106:107], v[152:153], v[106:107], -v[80:81]
	ds_read_b128 v[78:81], v73 offset:29184
	v_fma_f64 v[104:105], v[0:1], v[110:111], v[104:105]
	v_fma_f64 v[108:109], v[2:3], v[110:111], -v[108:109]
	v_fma_f64 v[110:111], v[22:23], v[114:115], v[112:113]
	s_waitcnt vmcnt(7) lgkmcnt(1)
	v_mul_f64 v[112:113], v[28:29], v[128:129]
	ds_read_b128 v[0:3], v73 offset:43008
	v_mul_f64 v[116:117], v[26:27], v[128:129]
	v_fma_f64 v[114:115], v[24:25], v[114:115], -v[38:39]
	ds_read_b128 v[22:25], v73 offset:44544
	s_waitcnt vmcnt(6)
	v_mul_f64 v[38:39], v[32:33], v[140:141]
	v_mul_f64 v[128:129], v[30:31], v[140:141]
	s_waitcnt vmcnt(5) lgkmcnt(1)
	v_mul_f64 v[140:141], v[2:3], v[144:145]
	v_fma_f64 v[112:113], v[26:27], v[126:127], v[112:113]
	v_mul_f64 v[26:27], v[0:1], v[144:145]
	v_fma_f64 v[116:117], v[28:29], v[126:127], -v[116:117]
	s_waitcnt vmcnt(4)
	v_mul_f64 v[28:29], v[36:37], v[148:149]
	v_mul_f64 v[126:127], v[34:35], v[148:149]
	v_fma_f64 v[144:145], v[30:31], v[138:139], v[38:39]
	v_fma_f64 v[128:129], v[32:33], v[138:139], -v[128:129]
	v_fma_f64 v[138:139], v[0:1], v[142:143], v[140:141]
	s_waitcnt vmcnt(3)
	v_mul_f64 v[0:1], v[42:43], v[100:101]
	v_mul_f64 v[30:31], v[40:41], v[100:101]
	v_fma_f64 v[100:101], v[2:3], v[142:143], -v[26:27]
	s_waitcnt vmcnt(2)
	v_mul_f64 v[26:27], v[80:81], v[12:13]
	v_fma_f64 v[140:141], v[34:35], v[146:147], v[28:29]
	s_waitcnt vmcnt(1)
	v_mul_f64 v[28:29], v[124:125], v[16:17]
	v_mul_f64 v[16:17], v[122:123], v[16:17]
	;; [unrolled: 1-line block ×3, first 2 shown]
	v_fma_f64 v[0:1], v[40:41], v[98:99], v[0:1]
	v_fma_f64 v[2:3], v[42:43], v[98:99], -v[30:31]
	s_waitcnt vmcnt(0) lgkmcnt(0)
	v_mul_f64 v[30:31], v[24:25], v[20:21]
	v_mul_f64 v[20:21], v[22:23], v[20:21]
	v_fma_f64 v[42:43], v[78:79], v[10:11], v[26:27]
	v_add_f64 v[26:27], v[164:165], v[170:171]
	v_fma_f64 v[98:99], v[122:123], v[14:15], v[28:29]
	v_fma_f64 v[122:123], v[124:125], v[14:15], -v[16:17]
	v_fma_f64 v[79:80], v[80:81], v[10:11], -v[12:13]
	ds_read_b128 v[10:13], v73
	ds_read_b128 v[14:17], v73 offset:1536
	v_fma_f64 v[124:125], v[22:23], v[18:19], v[30:31]
	v_fma_f64 v[142:143], v[24:25], v[18:19], -v[20:21]
	v_fma_f64 v[22:23], v[26:27], -0.5, v[156:157]
	v_add_f64 v[24:25], v[160:161], v[168:169]
	v_add_f64 v[26:27], v[160:161], -v[168:169]
	v_fma_f64 v[126:127], v[36:37], v[146:147], -v[126:127]
	v_add_f64 v[28:29], v[158:159], v[166:167]
	s_waitcnt lgkmcnt(1)
	v_add_f64 v[32:33], v[12:13], v[75:76]
	v_add_f64 v[38:39], v[164:165], -v[170:171]
	v_add_f64 v[30:31], v[75:76], v[4:5]
	v_add_f64 v[18:19], v[10:11], v[158:159]
	v_fma_f64 v[24:25], v[24:25], -0.5, v[154:155]
	v_fma_f64 v[36:37], v[26:27], s[4:5], v[22:23]
	v_fma_f64 v[22:23], v[26:27], s[6:7], v[22:23]
	v_add_f64 v[20:21], v[154:155], v[160:161]
	v_add_f64 v[34:35], v[156:157], v[164:165]
	v_fma_f64 v[28:29], v[28:29], -0.5, v[10:11]
	v_add_f64 v[32:33], v[32:33], v[4:5]
	v_add_f64 v[4:5], v[75:76], -v[4:5]
	v_fma_f64 v[40:41], v[38:39], s[6:7], v[24:25]
	v_mul_f64 v[26:27], v[36:37], s[6:7]
	v_mul_f64 v[36:37], v[36:37], 0.5
	v_fma_f64 v[24:25], v[38:39], s[4:5], v[24:25]
	v_mul_f64 v[38:39], v[22:23], s[6:7]
	v_fma_f64 v[30:31], v[30:31], -0.5, v[12:13]
	v_add_f64 v[75:76], v[158:159], -v[166:167]
	v_mul_f64 v[22:23], v[22:23], -0.5
	v_add_f64 v[18:19], v[18:19], v[166:167]
	v_add_f64 v[20:21], v[20:21], v[168:169]
	;; [unrolled: 1-line block ×3, first 2 shown]
	v_fma_f64 v[26:27], v[40:41], 0.5, v[26:27]
	v_fma_f64 v[36:37], v[40:41], s[4:5], v[36:37]
	v_fma_f64 v[40:41], v[4:5], s[6:7], v[28:29]
	;; [unrolled: 1-line block ×3, first 2 shown]
	v_fma_f64 v[38:39], v[24:25], -0.5, v[38:39]
	v_fma_f64 v[146:147], v[75:76], s[4:5], v[30:31]
	v_fma_f64 v[75:76], v[75:76], s[6:7], v[30:31]
	v_fma_f64 v[148:149], v[24:25], s[4:5], v[22:23]
	v_add_f64 v[10:11], v[18:19], v[20:21]
	v_add_f64 v[12:13], v[32:33], v[34:35]
	v_add_f64 v[18:19], v[18:19], -v[20:21]
	v_add_f64 v[20:21], v[32:33], -v[34:35]
	v_add_f64 v[30:31], v[4:5], v[38:39]
	v_add_f64 v[34:35], v[4:5], -v[38:39]
	v_mov_b32_e32 v4, 0x1680
	v_cndmask_b32_e32 v4, 0, v4, vcc
	v_lshlrev_b32_e32 v5, 4, v77
	v_add_f64 v[22:23], v[40:41], v[26:27]
	v_add_f64 v[24:25], v[146:147], v[36:37]
	v_add3_u32 v71, 0, v4, v5
	v_add_f64 v[4:5], v[180:181], v[132:133]
	v_add_f64 v[32:33], v[75:76], v[148:149]
	v_add_f64 v[26:27], v[40:41], -v[26:27]
	v_add_f64 v[28:29], v[146:147], -v[36:37]
	;; [unrolled: 1-line block ×3, first 2 shown]
	ds_read_b128 v[38:41], v73 offset:3072
	ds_read_b128 v[75:78], v73 offset:4608
	s_waitcnt lgkmcnt(0)
	s_barrier
	ds_write_b128 v71, v[10:13]
	ds_write_b128 v71, v[22:25] offset:960
	ds_write_b128 v71, v[30:33] offset:1920
	;; [unrolled: 1-line block ×5, first 2 shown]
	v_add_f64 v[12:13], v[162:163], v[178:179]
	v_fma_f64 v[4:5], v[4:5], -0.5, v[172:173]
	v_add_f64 v[18:19], v[178:179], v[130:131]
	v_add_f64 v[20:21], v[178:179], -v[130:131]
	v_add_f64 v[10:11], v[14:15], v[94:95]
	v_add_f64 v[22:23], v[94:95], v[82:83]
	;; [unrolled: 1-line block ×5, first 2 shown]
	v_add_f64 v[32:33], v[180:181], -v[132:133]
	v_fma_f64 v[18:19], v[18:19], -0.5, v[162:163]
	v_fma_f64 v[12:13], v[20:21], s[4:5], v[4:5]
	v_fma_f64 v[4:5], v[20:21], s[6:7], v[4:5]
	v_add_f64 v[28:29], v[10:11], v[82:83]
	v_add_f64 v[10:11], v[172:173], v[180:181]
	v_fma_f64 v[14:15], v[22:23], -0.5, v[14:15]
	v_fma_f64 v[16:17], v[24:25], -0.5, v[16:17]
	v_add_f64 v[22:23], v[26:27], v[84:85]
	v_fma_f64 v[26:27], v[32:33], s[6:7], v[18:19]
	v_mul_f64 v[20:21], v[12:13], s[6:7]
	v_mul_f64 v[34:35], v[12:13], 0.5
	v_add_f64 v[36:37], v[96:97], -v[84:85]
	v_add_f64 v[81:82], v[94:95], -v[82:83]
	v_fma_f64 v[18:19], v[32:33], s[4:5], v[18:19]
	v_mul_f64 v[32:33], v[4:5], s[6:7]
	v_mul_f64 v[4:5], v[4:5], -0.5
	v_add_f64 v[24:25], v[10:11], v[132:133]
	v_fma_f64 v[83:84], v[26:27], 0.5, v[20:21]
	v_fma_f64 v[26:27], v[26:27], s[4:5], v[34:35]
	v_fma_f64 v[34:35], v[36:37], s[6:7], v[14:15]
	;; [unrolled: 1-line block ×5, first 2 shown]
	v_fma_f64 v[32:33], v[18:19], -0.5, v[32:33]
	v_fma_f64 v[4:5], v[18:19], s[4:5], v[4:5]
	v_add_f64 v[10:11], v[28:29], v[30:31]
	v_add_f64 v[12:13], v[22:23], v[24:25]
	v_add_f64 v[14:15], v[28:29], -v[30:31]
	v_add_f64 v[16:17], v[22:23], -v[24:25]
	v_add_f64 v[20:21], v[94:95], v[26:27]
	v_add_f64 v[24:25], v[94:95], -v[26:27]
	v_add_f64 v[26:27], v[36:37], v[32:33]
	v_add_f64 v[28:29], v[81:82], v[4:5]
	v_add_f64 v[30:31], v[36:37], -v[32:33]
	v_add_f64 v[32:33], v[81:82], -v[4:5]
	v_lshlrev_b32_sdwa v4, v72, v51 dst_sel:DWORD dst_unused:UNUSED_PAD src0_sel:DWORD src1_sel:BYTE_0
	v_mul_u32_u24_e32 v5, 0x1680, v50
	v_add_f64 v[18:19], v[34:35], v[83:84]
	v_add_f64 v[22:23], v[34:35], -v[83:84]
	v_add3_u32 v34, 0, v5, v4
	v_add_f64 v[4:5], v[88:89], v[106:107]
	ds_write_b128 v34, v[10:13]
	ds_write_b128 v34, v[18:21] offset:960
	ds_write_b128 v34, v[26:29] offset:1920
	ds_write_b128 v34, v[14:17] offset:2880
	ds_write_b128 v34, v[22:25] offset:3840
	ds_write_b128 v34, v[30:33] offset:4800
	v_add_f64 v[12:13], v[92:93], v[118:119]
	v_add_f64 v[14:15], v[118:119], v[120:121]
	v_fma_f64 v[4:5], v[4:5], -0.5, v[134:135]
	v_add_f64 v[16:17], v[118:119], -v[120:121]
	v_add_f64 v[18:19], v[136:137], v[90:91]
	v_add_f64 v[20:21], v[86:87], v[102:103]
	v_add_f64 v[28:29], v[88:89], -v[106:107]
	v_add_f64 v[10:11], v[38:39], v[136:137]
	v_add_f64 v[26:27], v[12:13], v[120:121]
	v_fma_f64 v[14:15], v[14:15], -0.5, v[92:93]
	v_add_f64 v[22:23], v[40:41], v[86:87]
	v_fma_f64 v[12:13], v[16:17], s[4:5], v[4:5]
	v_fma_f64 v[4:5], v[16:17], s[6:7], v[4:5]
	v_fma_f64 v[18:19], v[18:19], -0.5, v[38:39]
	v_fma_f64 v[20:21], v[20:21], -0.5, v[40:41]
	v_add_f64 v[38:39], v[136:137], -v[90:91]
	v_add_f64 v[24:25], v[10:11], v[90:91]
	v_fma_f64 v[32:33], v[28:29], s[6:7], v[14:15]
	v_fma_f64 v[14:15], v[28:29], s[4:5], v[14:15]
	v_mul_f64 v[16:17], v[12:13], s[6:7]
	v_mul_f64 v[34:35], v[12:13], 0.5
	v_mul_f64 v[28:29], v[4:5], s[6:7]
	v_mul_f64 v[4:5], v[4:5], -0.5
	v_add_f64 v[10:11], v[134:135], v[88:89]
	v_add_f64 v[36:37], v[86:87], -v[102:103]
	v_fma_f64 v[50:51], v[38:39], s[4:5], v[20:21]
	v_fma_f64 v[38:39], v[38:39], s[6:7], v[20:21]
	v_fma_f64 v[40:41], v[32:33], 0.5, v[16:17]
	v_fma_f64 v[32:33], v[32:33], s[4:5], v[34:35]
	v_add_f64 v[22:23], v[22:23], v[102:103]
	v_fma_f64 v[4:5], v[14:15], s[4:5], v[4:5]
	v_add_f64 v[30:31], v[10:11], v[106:107]
	v_fma_f64 v[34:35], v[36:37], s[6:7], v[18:19]
	v_fma_f64 v[36:37], v[36:37], s[4:5], v[18:19]
	v_fma_f64 v[71:72], v[14:15], -0.5, v[28:29]
	v_add_f64 v[10:11], v[24:25], v[26:27]
	v_add_f64 v[14:15], v[24:25], -v[26:27]
	v_add_f64 v[20:21], v[50:51], v[32:33]
	v_add_f64 v[24:25], v[50:51], -v[32:33]
	;; [unrolled: 2-line block ×3, first 2 shown]
	v_mul_u32_u24_e32 v4, 0x1680, v49
	v_lshlrev_b32_e32 v5, 4, v74
	v_add_f64 v[12:13], v[22:23], v[30:31]
	v_add_f64 v[16:17], v[22:23], -v[30:31]
	v_add_f64 v[18:19], v[34:35], v[40:41]
	v_add_f64 v[22:23], v[34:35], -v[40:41]
	v_add3_u32 v34, 0, v4, v5
	v_add_f64 v[4:5], v[116:117], v[100:101]
	v_add_f64 v[26:27], v[36:37], v[71:72]
	v_add_f64 v[30:31], v[36:37], -v[71:72]
	ds_write_b128 v34, v[10:13]
	ds_write_b128 v34, v[18:21] offset:960
	ds_write_b128 v34, v[26:29] offset:1920
	;; [unrolled: 1-line block ×5, first 2 shown]
	v_add_f64 v[12:13], v[104:105], v[112:113]
	v_fma_f64 v[4:5], v[4:5], -0.5, v[108:109]
	v_add_f64 v[14:15], v[112:113], v[138:139]
	v_add_f64 v[16:17], v[112:113], -v[138:139]
	v_add_f64 v[20:21], v[114:115], v[128:129]
	v_add_f64 v[28:29], v[116:117], -v[100:101]
	v_add_f64 v[10:11], v[75:76], v[110:111]
	v_add_f64 v[18:19], v[110:111], v[144:145]
	;; [unrolled: 1-line block ×3, first 2 shown]
	v_add_f64 v[38:39], v[110:111], -v[144:145]
	v_fma_f64 v[14:15], v[14:15], -0.5, v[104:105]
	v_fma_f64 v[12:13], v[16:17], s[4:5], v[4:5]
	v_fma_f64 v[4:5], v[16:17], s[6:7], v[4:5]
	v_fma_f64 v[20:21], v[20:21], -0.5, v[77:78]
	v_add_f64 v[22:23], v[77:78], v[114:115]
	v_add_f64 v[24:25], v[10:11], v[144:145]
	;; [unrolled: 1-line block ×3, first 2 shown]
	v_fma_f64 v[18:19], v[18:19], -0.5, v[75:76]
	v_fma_f64 v[32:33], v[28:29], s[6:7], v[14:15]
	v_mul_f64 v[16:17], v[12:13], s[6:7]
	v_mul_f64 v[34:35], v[12:13], 0.5
	v_fma_f64 v[14:15], v[28:29], s[4:5], v[14:15]
	v_mul_f64 v[28:29], v[4:5], s[6:7]
	v_mul_f64 v[4:5], v[4:5], -0.5
	v_add_f64 v[36:37], v[114:115], -v[128:129]
	v_fma_f64 v[49:50], v[38:39], s[4:5], v[20:21]
	v_fma_f64 v[38:39], v[38:39], s[6:7], v[20:21]
	v_fma_f64 v[40:41], v[32:33], 0.5, v[16:17]
	v_fma_f64 v[32:33], v[32:33], s[4:5], v[34:35]
	v_add_f64 v[22:23], v[22:23], v[128:129]
	v_add_f64 v[30:31], v[10:11], v[100:101]
	v_fma_f64 v[4:5], v[14:15], s[4:5], v[4:5]
	v_fma_f64 v[34:35], v[36:37], s[6:7], v[18:19]
	;; [unrolled: 1-line block ×3, first 2 shown]
	v_fma_f64 v[71:72], v[14:15], -0.5, v[28:29]
	v_add_f64 v[10:11], v[24:25], v[26:27]
	v_add_f64 v[14:15], v[24:25], -v[26:27]
	v_add_f64 v[20:21], v[49:50], v[32:33]
	v_add_f64 v[24:25], v[49:50], -v[32:33]
	;; [unrolled: 2-line block ×3, first 2 shown]
	v_mul_u32_u24_e32 v4, 0x1680, v8
	v_lshlrev_b32_e32 v5, 4, v9
	v_add_f64 v[12:13], v[22:23], v[30:31]
	v_add_f64 v[18:19], v[34:35], v[40:41]
	v_add3_u32 v8, 0, v4, v5
	v_add_f64 v[4:5], v[79:80], v[142:143]
	v_add_f64 v[26:27], v[36:37], v[71:72]
	v_add_f64 v[16:17], v[22:23], -v[30:31]
	v_add_f64 v[22:23], v[34:35], -v[40:41]
	;; [unrolled: 1-line block ×3, first 2 shown]
	ds_write_b128 v8, v[10:13]
	ds_write_b128 v8, v[18:21] offset:960
	ds_write_b128 v8, v[26:29] offset:1920
	;; [unrolled: 1-line block ×5, first 2 shown]
	v_add_f64 v[10:11], v[140:141], v[42:43]
	v_fma_f64 v[4:5], v[4:5], -0.5, v[126:127]
	v_add_f64 v[12:13], v[42:43], v[124:125]
	v_add_f64 v[14:15], v[42:43], -v[124:125]
	v_add_f64 v[8:9], v[44:45], v[0:1]
	v_add_f64 v[16:17], v[0:1], v[98:99]
	v_add_f64 v[18:19], v[2:3], v[122:123]
	v_add_f64 v[26:27], v[79:80], -v[142:143]
	v_add_f64 v[24:25], v[10:11], v[124:125]
	v_add_f64 v[20:21], v[46:47], v[2:3]
	v_fma_f64 v[12:13], v[12:13], -0.5, v[140:141]
	v_fma_f64 v[10:11], v[14:15], s[4:5], v[4:5]
	v_fma_f64 v[4:5], v[14:15], s[6:7], v[4:5]
	v_add_f64 v[22:23], v[8:9], v[98:99]
	v_add_f64 v[8:9], v[126:127], v[79:80]
	v_fma_f64 v[16:17], v[16:17], -0.5, v[44:45]
	v_fma_f64 v[18:19], v[18:19], -0.5, v[46:47]
	v_add_f64 v[2:3], v[2:3], -v[122:123]
	v_fma_f64 v[30:31], v[26:27], s[6:7], v[12:13]
	v_mul_f64 v[14:15], v[10:11], s[6:7]
	v_mul_f64 v[32:33], v[10:11], 0.5
	v_add_f64 v[0:1], v[0:1], -v[98:99]
	v_fma_f64 v[12:13], v[26:27], s[4:5], v[12:13]
	v_mul_f64 v[26:27], v[4:5], s[6:7]
	v_mul_f64 v[4:5], v[4:5], -0.5
	v_add_f64 v[20:21], v[20:21], v[122:123]
	v_add_f64 v[28:29], v[8:9], v[142:143]
	v_fma_f64 v[34:35], v[30:31], 0.5, v[14:15]
	v_fma_f64 v[30:31], v[30:31], s[4:5], v[32:33]
	v_fma_f64 v[32:33], v[2:3], s[6:7], v[16:17]
	;; [unrolled: 1-line block ×5, first 2 shown]
	v_fma_f64 v[26:27], v[12:13], -0.5, v[26:27]
	v_fma_f64 v[4:5], v[12:13], s[4:5], v[4:5]
	v_add_f64 v[8:9], v[22:23], v[24:25]
	v_add_f64 v[10:11], v[20:21], v[28:29]
	;; [unrolled: 1-line block ×4, first 2 shown]
	v_add_f64 v[0:1], v[22:23], -v[24:25]
	v_add_f64 v[2:3], v[20:21], -v[28:29]
	v_add_f64 v[20:21], v[38:39], v[26:27]
	v_add_f64 v[22:23], v[40:41], v[4:5]
	v_add_f64 v[16:17], v[32:33], -v[34:35]
	v_add_f64 v[18:19], v[36:37], -v[30:31]
	;; [unrolled: 1-line block ×4, first 2 shown]
	v_mul_u32_u24_e32 v4, 0x1680, v6
	v_lshlrev_b32_e32 v5, 4, v7
	v_add3_u32 v4, 0, v4, v5
	ds_write_b128 v4, v[8:11]
	ds_write_b128 v4, v[12:15] offset:960
	ds_write_b128 v4, v[20:23] offset:1920
	;; [unrolled: 1-line block ×5, first 2 shown]
	v_add_co_u32_e32 v10, vcc, s12, v64
	v_addc_co_u32_e32 v11, vcc, v48, v65, vcc
	v_add_co_u32_e32 v0, vcc, s28, v10
	v_addc_co_u32_e32 v1, vcc, 0, v11, vcc
	;; [unrolled: 2-line block ×5, first 2 shown]
	s_movk_i32 s4, 0x48
	s_waitcnt lgkmcnt(0)
	s_barrier
	global_load_dwordx4 v[20:23], v[0:1], off offset:1504
	global_load_dwordx4 v[26:29], v[2:3], off offset:1888
	;; [unrolled: 1-line block ×4, first 2 shown]
	v_add_u32_e32 v0, 0xffffffb8, v52
	v_cmp_gt_u32_e32 vcc, s4, v52
	v_cndmask_b32_e32 v6, v0, v70, vcc
	v_mov_b32_e32 v7, v53
	v_lshlrev_b64 v[0:1], 4, v[6:7]
	s_movk_i32 s4, 0x2d83
	v_add_u32_e32 v8, 0x2a0, v52
	v_mul_u32_u24_sdwa v2, v8, s4 dst_sel:DWORD dst_unused:UNUSED_PAD src0_sel:WORD_0 src1_sel:DWORD
	v_add_co_u32_e32 v0, vcc, s12, v0
	v_lshrrev_b32_e32 v7, 22, v2
	v_addc_co_u32_e32 v1, vcc, v48, v1, vcc
	v_mul_lo_u16_e32 v2, 0x168, v7
	v_add_co_u32_e32 v0, vcc, s28, v0
	v_sub_u16_e32 v2, v8, v2
	v_addc_co_u32_e32 v1, vcc, 0, v1, vcc
	v_lshlrev_b32_e32 v9, 4, v2
	v_add_co_u32_e32 v2, vcc, s12, v9
	v_addc_co_u32_e32 v3, vcc, 0, v48, vcc
	v_add_co_u32_e32 v2, vcc, s28, v2
	global_load_dwordx4 v[38:41], v[4:5], off offset:480
	global_load_dwordx4 v[42:45], v[4:5], off offset:864
	v_addc_co_u32_e32 v3, vcc, 0, v3, vcc
	global_load_dwordx4 v[64:67], v[0:1], off offset:1504
	global_load_dwordx4 v[74:77], v[2:3], off offset:1504
	v_mul_u32_u24_sdwa v0, v68, s4 dst_sel:DWORD dst_unused:UNUSED_PAD src0_sel:WORD_0 src1_sel:DWORD
	v_lshrrev_b32_e32 v0, 22, v0
	v_mul_lo_u16_e32 v0, 0x168, v0
	v_sub_u16_e32 v0, v68, v0
	v_add_u32_e32 v2, 0x360, v52
	v_lshlrev_b32_e32 v12, 4, v0
	v_mul_u32_u24_sdwa v3, v2, s4 dst_sel:DWORD dst_unused:UNUSED_PAD src0_sel:WORD_0 src1_sel:DWORD
	v_add_co_u32_e32 v0, vcc, s12, v12
	v_lshrrev_b32_e32 v3, 22, v3
	v_addc_co_u32_e32 v1, vcc, 0, v48, vcc
	v_mul_lo_u16_e32 v3, 0x168, v3
	v_add_co_u32_e32 v0, vcc, s28, v0
	v_sub_u16_e32 v2, v2, v3
	v_addc_co_u32_e32 v1, vcc, 0, v1, vcc
	v_lshlrev_b32_e32 v13, 4, v2
	v_add_co_u32_e32 v2, vcc, s12, v13
	v_addc_co_u32_e32 v3, vcc, 0, v48, vcc
	v_add_co_u32_e32 v2, vcc, s28, v2
	v_addc_co_u32_e32 v3, vcc, 0, v3, vcc
	global_load_dwordx4 v[78:81], v[0:1], off offset:1504
	global_load_dwordx4 v[82:85], v[2:3], off offset:1504
	v_add_u32_e32 v0, 0x3c0, v52
	v_mul_u32_u24_sdwa v1, v0, s4 dst_sel:DWORD dst_unused:UNUSED_PAD src0_sel:WORD_0 src1_sel:DWORD
	v_lshrrev_b32_e32 v1, 22, v1
	v_mul_lo_u16_e32 v1, 0x168, v1
	v_sub_u16_e32 v0, v0, v1
	v_add_u32_e32 v2, 0x420, v52
	v_lshlrev_b32_e32 v15, 4, v0
	v_mul_u32_u24_sdwa v3, v2, s4 dst_sel:DWORD dst_unused:UNUSED_PAD src0_sel:WORD_0 src1_sel:DWORD
	v_add_co_u32_e32 v0, vcc, s12, v15
	v_lshrrev_b32_e32 v16, 22, v3
	v_addc_co_u32_e32 v1, vcc, 0, v48, vcc
	v_mul_lo_u16_e32 v3, 0x168, v16
	v_add_co_u32_e32 v0, vcc, s28, v0
	v_sub_u16_e32 v2, v2, v3
	v_addc_co_u32_e32 v1, vcc, 0, v1, vcc
	v_lshlrev_b32_e32 v14, 4, v2
	v_add_co_u32_e32 v2, vcc, s12, v14
	v_addc_co_u32_e32 v3, vcc, 0, v48, vcc
	v_add_co_u32_e32 v2, vcc, s28, v2
	v_addc_co_u32_e32 v3, vcc, 0, v3, vcc
	global_load_dwordx4 v[86:89], v[0:1], off offset:1504
	global_load_dwordx4 v[90:93], v[2:3], off offset:1504
	v_mul_u32_u24_sdwa v0, v69, s4 dst_sel:DWORD dst_unused:UNUSED_PAD src0_sel:WORD_0 src1_sel:DWORD
	v_lshrrev_b32_e32 v0, 22, v0
	v_mul_lo_u16_e32 v0, 0x168, v0
	v_sub_u16_e32 v0, v69, v0
	v_add_u32_e32 v2, 0x4e0, v52
	v_lshlrev_b32_e32 v17, 4, v0
	v_mul_u32_u24_sdwa v3, v2, s4 dst_sel:DWORD dst_unused:UNUSED_PAD src0_sel:WORD_0 src1_sel:DWORD
	v_add_co_u32_e32 v0, vcc, s12, v17
	v_lshrrev_b32_e32 v3, 22, v3
	v_addc_co_u32_e32 v1, vcc, 0, v48, vcc
	v_mul_lo_u16_e32 v3, 0x168, v3
	v_add_co_u32_e32 v0, vcc, s28, v0
	v_sub_u16_e32 v2, v2, v3
	v_addc_co_u32_e32 v1, vcc, 0, v1, vcc
	v_lshlrev_b32_e32 v18, 4, v2
	v_add_co_u32_e32 v2, vcc, s12, v18
	v_addc_co_u32_e32 v3, vcc, 0, v48, vcc
	v_add_co_u32_e32 v2, vcc, s28, v2
	v_addc_co_u32_e32 v3, vcc, 0, v3, vcc
	global_load_dwordx4 v[68:71], v[0:1], off offset:1504
	global_load_dwordx4 v[94:97], v[2:3], off offset:1504
	v_add_u32_e32 v0, 0x540, v52
	v_mul_u32_u24_sdwa v1, v0, s4 dst_sel:DWORD dst_unused:UNUSED_PAD src0_sel:WORD_0 src1_sel:DWORD
	v_lshrrev_b32_e32 v1, 22, v1
	v_mul_lo_u16_e32 v1, 0x168, v1
	v_sub_u16_e32 v0, v0, v1
	v_lshlrev_b32_e32 v19, 4, v0
	v_add_co_u32_e32 v0, vcc, s12, v19
	v_addc_co_u32_e32 v1, vcc, 0, v48, vcc
	v_add_co_u32_e32 v0, vcc, s28, v0
	v_addc_co_u32_e32 v1, vcc, 0, v1, vcc
	global_load_dwordx4 v[98:101], v[0:1], off offset:1504
	ds_read_b128 v[102:105], v73 offset:23040
	ds_read_b128 v[0:3], v73 offset:21504
	;; [unrolled: 1-line block ×5, first 2 shown]
	s_waitcnt vmcnt(14) lgkmcnt(4)
	v_mul_f64 v[46:47], v[104:105], v[22:23]
	v_mul_f64 v[22:23], v[102:103], v[22:23]
	s_waitcnt vmcnt(12) lgkmcnt(2)
	v_mul_f64 v[49:50], v[108:109], v[32:33]
	v_mul_f64 v[32:33], v[106:107], v[32:33]
	s_movk_i32 s4, 0x47
	v_cmp_lt_u32_e32 vcc, s4, v52
	v_lshlrev_b32_e32 v6, 4, v6
	s_movk_i32 s4, 0x6000
	v_fma_f64 v[102:103], v[102:103], v[20:21], v[46:47]
	s_waitcnt vmcnt(10) lgkmcnt(1)
	v_mul_f64 v[46:47], v[112:113], v[40:41]
	v_mul_f64 v[40:41], v[110:111], v[40:41]
	v_fma_f64 v[104:105], v[104:105], v[20:21], -v[22:23]
	ds_read_b128 v[20:23], v73 offset:29184
	v_fma_f64 v[49:50], v[106:107], v[30:31], v[49:50]
	s_waitcnt vmcnt(8) lgkmcnt(1)
	v_mul_f64 v[106:107], v[116:117], v[66:67]
	v_mul_f64 v[66:67], v[114:115], v[66:67]
	v_fma_f64 v[108:109], v[108:109], v[30:31], -v[32:33]
	ds_read_b128 v[30:33], v73 offset:30720
	v_fma_f64 v[110:111], v[110:111], v[38:39], v[46:47]
	v_fma_f64 v[112:113], v[112:113], v[38:39], -v[40:41]
	ds_read_b128 v[38:41], v73 offset:32256
	s_waitcnt lgkmcnt(2)
	v_mul_f64 v[118:119], v[22:23], v[28:29]
	v_fma_f64 v[106:107], v[114:115], v[64:65], v[106:107]
	v_fma_f64 v[114:115], v[116:117], v[64:65], -v[66:67]
	s_waitcnt lgkmcnt(1)
	v_mul_f64 v[116:117], v[32:33], v[36:37]
	v_mul_f64 v[28:29], v[20:21], v[28:29]
	ds_read_b128 v[64:67], v73 offset:33792
	v_mul_f64 v[36:37], v[30:31], v[36:37]
	s_waitcnt lgkmcnt(1)
	v_mul_f64 v[120:121], v[40:41], v[44:45]
	v_mul_f64 v[122:123], v[38:39], v[44:45]
	ds_read_b128 v[44:47], v73 offset:35328
	v_fma_f64 v[118:119], v[20:21], v[26:27], v[118:119]
	v_fma_f64 v[116:117], v[30:31], v[34:35], v[116:117]
	s_waitcnt vmcnt(7) lgkmcnt(1)
	v_mul_f64 v[30:31], v[64:65], v[76:77]
	v_fma_f64 v[126:127], v[22:23], v[26:27], -v[28:29]
	v_fma_f64 v[128:129], v[32:33], v[34:35], -v[36:37]
	ds_read_b128 v[20:23], v73 offset:36864
	ds_read_b128 v[26:29], v73 offset:38400
	s_waitcnt vmcnt(6) lgkmcnt(2)
	v_mul_f64 v[34:35], v[46:47], v[80:81]
	v_mul_f64 v[124:125], v[66:67], v[76:77]
	;; [unrolled: 1-line block ×3, first 2 shown]
	v_fma_f64 v[120:121], v[38:39], v[42:43], v[120:121]
	v_fma_f64 v[122:123], v[40:41], v[42:43], -v[122:123]
	v_fma_f64 v[130:131], v[66:67], v[74:75], -v[30:31]
	s_waitcnt vmcnt(5) lgkmcnt(1)
	v_mul_f64 v[38:39], v[22:23], v[84:85]
	v_mul_f64 v[40:41], v[20:21], v[84:85]
	ds_read_b128 v[30:33], v73 offset:39936
	s_waitcnt vmcnt(4) lgkmcnt(1)
	v_mul_f64 v[42:43], v[28:29], v[88:89]
	v_fma_f64 v[132:133], v[44:45], v[78:79], v[34:35]
	v_mul_f64 v[44:45], v[26:27], v[88:89]
	v_fma_f64 v[124:125], v[64:65], v[74:75], v[124:125]
	v_fma_f64 v[46:47], v[46:47], v[78:79], -v[36:37]
	ds_read_b128 v[34:37], v73 offset:41472
	s_waitcnt vmcnt(3) lgkmcnt(1)
	v_mul_f64 v[64:65], v[32:33], v[92:93]
	v_fma_f64 v[134:135], v[20:21], v[82:83], v[38:39]
	v_fma_f64 v[136:137], v[22:23], v[82:83], -v[40:41]
	ds_read_b128 v[20:23], v73 offset:43008
	v_fma_f64 v[138:139], v[26:27], v[86:87], v[42:43]
	v_mul_f64 v[38:39], v[30:31], v[92:93]
	v_fma_f64 v[140:141], v[28:29], v[86:87], -v[44:45]
	ds_read_b128 v[26:29], v73 offset:44544
	s_waitcnt vmcnt(1) lgkmcnt(1)
	v_mul_f64 v[44:45], v[22:23], v[96:97]
	v_fma_f64 v[142:143], v[30:31], v[90:91], v[64:65]
	v_mul_f64 v[64:65], v[20:21], v[96:97]
	v_mul_f64 v[40:41], v[36:37], v[70:71]
	v_mul_f64 v[42:43], v[34:35], v[70:71]
	v_fma_f64 v[144:145], v[32:33], v[90:91], -v[38:39]
	ds_read_b128 v[30:33], v73
	v_fma_f64 v[150:151], v[20:21], v[94:95], v[44:45]
	v_fma_f64 v[152:153], v[22:23], v[94:95], -v[64:65]
	ds_read_b128 v[20:23], v73 offset:1536
	v_fma_f64 v[146:147], v[34:35], v[68:69], v[40:41]
	v_fma_f64 v[148:149], v[36:37], v[68:69], -v[42:43]
	s_waitcnt vmcnt(0) lgkmcnt(2)
	v_mul_f64 v[66:67], v[28:29], v[100:101]
	v_mul_f64 v[70:71], v[26:27], v[100:101]
	ds_read_b128 v[34:37], v73 offset:3072
	ds_read_b128 v[38:41], v73 offset:4608
	s_waitcnt lgkmcnt(2)
	v_add_f64 v[42:43], v[20:21], -v[49:50]
	v_add_f64 v[44:45], v[22:23], -v[108:109]
	s_waitcnt lgkmcnt(1)
	v_add_f64 v[64:65], v[34:35], -v[110:111]
	v_fma_f64 v[154:155], v[26:27], v[98:99], v[66:67]
	v_fma_f64 v[156:157], v[28:29], v[98:99], -v[70:71]
	v_add_f64 v[26:27], v[30:31], -v[102:103]
	v_add_f64 v[28:29], v[32:33], -v[104:105]
	;; [unrolled: 1-line block ×3, first 2 shown]
	v_fma_f64 v[20:21], v[20:21], 2.0, -v[42:43]
	v_fma_f64 v[22:23], v[22:23], 2.0, -v[44:45]
	;; [unrolled: 1-line block ×3, first 2 shown]
	s_waitcnt lgkmcnt(0)
	v_add_f64 v[68:69], v[38:39], -v[106:107]
	ds_read_b128 v[74:77], v73 offset:6144
	ds_read_b128 v[78:81], v73 offset:7680
	;; [unrolled: 1-line block ×10, first 2 shown]
	v_fma_f64 v[30:31], v[30:31], 2.0, -v[26:27]
	v_fma_f64 v[32:33], v[32:33], 2.0, -v[28:29]
	;; [unrolled: 1-line block ×3, first 2 shown]
	s_waitcnt lgkmcnt(0)
	s_barrier
	ds_write_b128 v73, v[30:33]
	ds_write_b128 v73, v[26:29] offset:5760
	ds_write_b128 v73, v[20:23] offset:1536
	;; [unrolled: 1-line block ×5, first 2 shown]
	v_mov_b32_e32 v22, 0x2d00
	v_add_f64 v[70:71], v[40:41], -v[114:115]
	v_cndmask_b32_e32 v22, 0, v22, vcc
	v_add_f64 v[20:21], v[74:75], -v[118:119]
	v_add3_u32 v6, 0, v22, v6
	v_add_f64 v[22:23], v[76:77], -v[126:127]
	v_fma_f64 v[38:39], v[38:39], 2.0, -v[68:69]
	v_add_f64 v[30:31], v[78:79], -v[116:117]
	v_add_f64 v[32:33], v[80:81], -v[128:129]
	v_fma_f64 v[40:41], v[40:41], 2.0, -v[70:71]
	v_add_f64 v[34:35], v[82:83], -v[120:121]
	v_fma_f64 v[26:27], v[74:75], 2.0, -v[20:21]
	;; [unrolled: 2-line block ×3, first 2 shown]
	ds_write_b128 v6, v[68:71] offset:5760
	v_fma_f64 v[42:43], v[78:79], 2.0, -v[30:31]
	v_fma_f64 v[44:45], v[80:81], 2.0, -v[32:33]
	ds_write_b128 v6, v[38:41]
	v_add_f64 v[38:39], v[86:87], -v[124:125]
	v_add_f64 v[40:41], v[88:89], -v[130:131]
	v_fma_f64 v[64:65], v[82:83], 2.0, -v[34:35]
	v_fma_f64 v[66:67], v[84:85], 2.0, -v[36:37]
	ds_write_b128 v73, v[26:29] offset:11904
	ds_write_b128 v73, v[20:23] offset:17664
	v_add_f64 v[20:21], v[90:91], -v[132:133]
	v_add_f64 v[22:23], v[92:93], -v[46:47]
	ds_write_b128 v73, v[42:45] offset:13440
	ds_write_b128 v73, v[30:33] offset:19200
	v_fma_f64 v[68:69], v[86:87], 2.0, -v[38:39]
	v_fma_f64 v[70:71], v[88:89], 2.0, -v[40:41]
	v_add_f64 v[30:31], v[94:95], -v[134:135]
	v_add_f64 v[32:33], v[96:97], -v[136:137]
	ds_write_b128 v73, v[64:67] offset:14976
	ds_write_b128 v73, v[34:37] offset:20736
	v_fma_f64 v[26:27], v[90:91], 2.0, -v[20:21]
	v_fma_f64 v[28:29], v[92:93], 2.0, -v[22:23]
	v_add_f64 v[34:35], v[98:99], -v[138:139]
	v_add_f64 v[36:37], v[100:101], -v[140:141]
	v_mul_u32_u24_e32 v6, 0x2d00, v7
	v_add3_u32 v6, 0, v6, v9
	ds_write_b128 v6, v[68:71]
	ds_write_b128 v6, v[38:41] offset:5760
	v_add_u32_e32 v6, 0, v12
	v_fma_f64 v[38:39], v[94:95], 2.0, -v[30:31]
	v_fma_f64 v[40:41], v[96:97], 2.0, -v[32:33]
	ds_write_b128 v6, v[26:29] offset:23040
	v_fma_f64 v[26:27], v[98:99], 2.0, -v[34:35]
	v_fma_f64 v[28:29], v[100:101], 2.0, -v[36:37]
	ds_write_b128 v6, v[20:23] offset:28800
	v_add_f64 v[20:21], v[102:103], -v[142:143]
	v_add_f64 v[22:23], v[104:105], -v[144:145]
	v_add_u32_e32 v6, 0, v13
	ds_write_b128 v6, v[38:41] offset:23040
	ds_write_b128 v6, v[30:33] offset:28800
	v_add_u32_e32 v6, 0, v15
	v_add_f64 v[30:31], v[106:107], -v[146:147]
	v_add_f64 v[32:33], v[108:109], -v[148:149]
	ds_write_b128 v6, v[26:29] offset:23040
	ds_write_b128 v6, v[34:37] offset:28800
	v_fma_f64 v[26:27], v[102:103], 2.0, -v[20:21]
	v_fma_f64 v[28:29], v[104:105], 2.0, -v[22:23]
	v_mul_u32_u24_e32 v6, 0x2d00, v16
	v_add_f64 v[34:35], v[110:111], -v[150:151]
	v_add_f64 v[36:37], v[112:113], -v[152:153]
	v_add3_u32 v6, 0, v6, v14
	v_add_f64 v[12:13], v[0:1], -v[154:155]
	v_add_f64 v[14:15], v[2:3], -v[156:157]
	v_fma_f64 v[38:39], v[106:107], 2.0, -v[30:31]
	v_fma_f64 v[40:41], v[108:109], 2.0, -v[32:33]
	ds_write_b128 v6, v[26:29]
	v_fma_f64 v[26:27], v[110:111], 2.0, -v[34:35]
	v_fma_f64 v[28:29], v[112:113], 2.0, -v[36:37]
	ds_write_b128 v6, v[20:23] offset:5760
	v_fma_f64 v[0:1], v[0:1], 2.0, -v[12:13]
	v_fma_f64 v[2:3], v[2:3], 2.0, -v[14:15]
	v_add_u32_e32 v6, 0, v17
	ds_write_b128 v6, v[38:41] offset:34560
	ds_write_b128 v6, v[30:33] offset:40320
	v_add_u32_e32 v6, 0, v18
	ds_write_b128 v6, v[26:29] offset:34560
	ds_write_b128 v6, v[34:37] offset:40320
	;; [unrolled: 3-line block ×3, first 2 shown]
	v_add_co_u32_e32 v0, vcc, s25, v10
	v_addc_co_u32_e32 v1, vcc, 0, v11, vcc
	s_waitcnt lgkmcnt(0)
	s_barrier
	global_load_dwordx4 v[0:3], v[0:1], off offset:3168
	v_add_co_u32_e32 v22, vcc, s26, v24
	v_addc_co_u32_e32 v23, vcc, 0, v25, vcc
	global_load_dwordx4 v[12:15], v[22:23], off offset:608
	global_load_dwordx4 v[18:21], v[22:23], off offset:2144
	v_add_co_u32_e32 v16, vcc, s12, v62
	v_addc_co_u32_e32 v17, vcc, v48, v63, vcc
	v_add_co_u32_e32 v6, vcc, s25, v16
	v_addc_co_u32_e32 v7, vcc, 0, v17, vcc
	global_load_dwordx4 v[26:29], v[22:23], off offset:3680
	global_load_dwordx4 v[30:33], v[6:7], off offset:3168
	v_add_co_u32_e32 v46, vcc, s27, v24
	v_addc_co_u32_e32 v47, vcc, 0, v25, vcc
	v_add_co_u32_e32 v6, vcc, s24, v24
	v_addc_co_u32_e32 v7, vcc, 0, v25, vcc
	global_load_dwordx4 v[34:37], v[46:47], off offset:2656
	global_load_dwordx4 v[38:41], v[6:7], off offset:96
	v_subrev_u32_e32 v9, 48, v52
	v_cmp_gt_u32_e32 vcc, 48, v52
	v_cndmask_b32_e32 v8, v9, v8, vcc
	v_mov_b32_e32 v9, v53
	v_lshlrev_b64 v[42:43], 4, v[8:9]
	v_add_co_u32_e32 v9, vcc, s12, v42
	v_addc_co_u32_e32 v42, vcc, v48, v43, vcc
	v_add_co_u32_e32 v49, vcc, s25, v9
	v_addc_co_u32_e32 v50, vcc, 0, v42, vcc
	global_load_dwordx4 v[42:45], v[49:50], off offset:3168
	global_load_dwordx4 v[62:65], v[4:5], off offset:3936
	;; [unrolled: 1-line block ×8, first 2 shown]
	ds_read_b128 v[94:97], v73 offset:23040
	ds_read_b128 v[98:101], v73 offset:21504
	;; [unrolled: 1-line block ×3, first 2 shown]
	v_cmp_lt_u32_e32 vcc, 47, v52
	s_waitcnt vmcnt(14) lgkmcnt(2)
	v_mul_f64 v[22:23], v[96:97], v[2:3]
	v_mul_f64 v[46:47], v[94:95], v[2:3]
	ds_read_b128 v[2:5], v73 offset:26112
	s_waitcnt vmcnt(13) lgkmcnt(1)
	v_mul_f64 v[49:50], v[104:105], v[14:15]
	v_mul_f64 v[14:15], v[102:103], v[14:15]
	s_waitcnt vmcnt(12) lgkmcnt(0)
	v_mul_f64 v[106:107], v[2:3], v[20:21]
	v_fma_f64 v[70:71], v[94:95], v[0:1], v[22:23]
	v_mul_f64 v[94:95], v[4:5], v[20:21]
	ds_read_b128 v[20:23], v73 offset:27648
	v_fma_f64 v[46:47], v[96:97], v[0:1], -v[46:47]
	v_fma_f64 v[49:50], v[102:103], v[12:13], v[49:50]
	v_fma_f64 v[102:103], v[104:105], v[12:13], -v[14:15]
	ds_read_b128 v[12:15], v73 offset:29184
	s_waitcnt vmcnt(11) lgkmcnt(1)
	v_mul_f64 v[104:105], v[22:23], v[28:29]
	v_mul_f64 v[28:29], v[20:21], v[28:29]
	v_fma_f64 v[108:109], v[2:3], v[18:19], v[94:95]
	v_fma_f64 v[4:5], v[4:5], v[18:19], -v[106:107]
	s_waitcnt vmcnt(10) lgkmcnt(0)
	v_mul_f64 v[106:107], v[14:15], v[32:33]
	ds_read_b128 v[0:3], v73 offset:30720
	ds_read_b128 v[94:97], v73 offset:32256
	v_mul_f64 v[32:33], v[12:13], v[32:33]
	v_fma_f64 v[104:105], v[20:21], v[26:27], v[104:105]
	v_fma_f64 v[22:23], v[22:23], v[26:27], -v[28:29]
	s_waitcnt vmcnt(9) lgkmcnt(1)
	v_mul_f64 v[26:27], v[2:3], v[36:37]
	v_mul_f64 v[28:29], v[0:1], v[36:37]
	s_waitcnt vmcnt(8) lgkmcnt(0)
	v_mul_f64 v[36:37], v[96:97], v[40:41]
	ds_read_b128 v[18:21], v73 offset:33792
	v_fma_f64 v[106:107], v[12:13], v[30:31], v[106:107]
	v_fma_f64 v[110:111], v[14:15], v[30:31], -v[32:33]
	ds_read_b128 v[12:15], v73 offset:35328
	v_mul_f64 v[30:31], v[94:95], v[40:41]
	s_waitcnt vmcnt(7) lgkmcnt(1)
	v_mul_f64 v[32:33], v[20:21], v[44:45]
	v_fma_f64 v[112:113], v[0:1], v[34:35], v[26:27]
	v_fma_f64 v[114:115], v[2:3], v[34:35], -v[28:29]
	v_fma_f64 v[94:95], v[94:95], v[38:39], v[36:37]
	v_mul_f64 v[34:35], v[18:19], v[44:45]
	s_waitcnt vmcnt(6) lgkmcnt(0)
	v_mul_f64 v[36:37], v[14:15], v[64:65]
	ds_read_b128 v[0:3], v73 offset:36864
	ds_read_b128 v[26:29], v73 offset:38400
	v_fma_f64 v[96:97], v[96:97], v[38:39], -v[30:31]
	v_fma_f64 v[116:117], v[18:19], v[42:43], v[32:33]
	v_mul_f64 v[30:31], v[12:13], v[64:65]
	s_waitcnt vmcnt(5) lgkmcnt(1)
	v_mul_f64 v[32:33], v[2:3], v[68:69]
	v_mul_f64 v[38:39], v[0:1], v[68:69]
	v_fma_f64 v[118:119], v[20:21], v[42:43], -v[34:35]
	v_fma_f64 v[126:127], v[12:13], v[62:63], v[36:37]
	s_waitcnt vmcnt(4) lgkmcnt(0)
	v_mul_f64 v[12:13], v[28:29], v[76:77]
	ds_read_b128 v[18:21], v73 offset:39936
	v_mul_f64 v[34:35], v[26:27], v[76:77]
	v_fma_f64 v[128:129], v[14:15], v[62:63], -v[30:31]
	v_fma_f64 v[130:131], v[0:1], v[66:67], v[32:33]
	v_fma_f64 v[132:133], v[2:3], v[66:67], -v[38:39]
	ds_read_b128 v[0:3], v73 offset:41472
	s_waitcnt vmcnt(3) lgkmcnt(1)
	v_mul_f64 v[30:31], v[20:21], v[80:81]
	v_mul_f64 v[32:33], v[18:19], v[80:81]
	v_fma_f64 v[134:135], v[26:27], v[74:75], v[12:13]
	ds_read_b128 v[12:15], v73 offset:43008
	v_fma_f64 v[136:137], v[28:29], v[74:75], -v[34:35]
	ds_read_b128 v[26:29], v73 offset:44544
	s_waitcnt vmcnt(2) lgkmcnt(2)
	v_mul_f64 v[34:35], v[2:3], v[84:85]
	v_mul_f64 v[36:37], v[0:1], v[84:85]
	v_fma_f64 v[138:139], v[18:19], v[78:79], v[30:31]
	s_waitcnt vmcnt(1) lgkmcnt(1)
	v_mul_f64 v[18:19], v[14:15], v[88:89]
	v_mul_f64 v[30:31], v[12:13], v[88:89]
	s_waitcnt vmcnt(0) lgkmcnt(0)
	v_mul_f64 v[38:39], v[28:29], v[92:93]
	v_fma_f64 v[140:141], v[20:21], v[78:79], -v[32:33]
	v_mul_f64 v[20:21], v[26:27], v[92:93]
	v_fma_f64 v[142:143], v[0:1], v[82:83], v[34:35]
	v_fma_f64 v[144:145], v[2:3], v[82:83], -v[36:37]
	ds_read_b128 v[0:3], v73
	v_fma_f64 v[146:147], v[12:13], v[86:87], v[18:19]
	v_fma_f64 v[148:149], v[14:15], v[86:87], -v[30:31]
	ds_read_b128 v[12:15], v73 offset:1536
	v_fma_f64 v[150:151], v[26:27], v[90:91], v[38:39]
	s_waitcnt lgkmcnt(1)
	v_add_f64 v[18:19], v[0:1], -v[70:71]
	v_fma_f64 v[70:71], v[28:29], v[90:91], -v[20:21]
	ds_read_b128 v[26:29], v73 offset:3072
	ds_read_b128 v[34:37], v73 offset:4608
	v_add_f64 v[20:21], v[2:3], -v[46:47]
	s_waitcnt lgkmcnt(2)
	v_add_f64 v[30:31], v[12:13], -v[49:50]
	v_add_f64 v[32:33], v[14:15], -v[102:103]
	ds_read_b128 v[62:65], v73 offset:6144
	ds_read_b128 v[66:69], v73 offset:7680
	;; [unrolled: 1-line block ×4, first 2 shown]
	s_waitcnt lgkmcnt(5)
	v_add_f64 v[38:39], v[26:27], -v[108:109]
	v_add_f64 v[40:41], v[28:29], -v[4:5]
	s_waitcnt lgkmcnt(4)
	v_add_f64 v[42:43], v[34:35], -v[104:105]
	v_add_f64 v[44:45], v[36:37], -v[22:23]
	v_fma_f64 v[0:1], v[0:1], 2.0, -v[18:19]
	v_fma_f64 v[2:3], v[2:3], 2.0, -v[20:21]
	s_waitcnt lgkmcnt(3)
	v_add_f64 v[74:75], v[62:63], -v[106:107]
	v_add_f64 v[76:77], v[64:65], -v[110:111]
	s_waitcnt lgkmcnt(2)
	v_add_f64 v[86:87], v[66:67], -v[112:113]
	v_add_f64 v[88:89], v[68:69], -v[114:115]
	;; [unrolled: 3-line block ×3, first 2 shown]
	v_fma_f64 v[12:13], v[12:13], 2.0, -v[30:31]
	v_fma_f64 v[14:15], v[14:15], 2.0, -v[32:33]
	;; [unrolled: 1-line block ×6, first 2 shown]
	s_waitcnt lgkmcnt(0)
	v_add_f64 v[94:95], v[82:83], -v[116:117]
	v_add_f64 v[96:97], v[84:85], -v[118:119]
	v_fma_f64 v[62:63], v[62:63], 2.0, -v[74:75]
	v_fma_f64 v[64:65], v[64:65], 2.0, -v[76:77]
	;; [unrolled: 1-line block ×6, first 2 shown]
	ds_read_b128 v[102:105], v73 offset:12288
	ds_read_b128 v[106:109], v73 offset:13824
	;; [unrolled: 1-line block ×6, first 2 shown]
	s_waitcnt lgkmcnt(0)
	s_barrier
	ds_write_b128 v73, v[0:3]
	ds_write_b128 v73, v[18:21] offset:11520
	ds_write_b128 v73, v[12:15] offset:1536
	;; [unrolled: 1-line block ×13, first 2 shown]
	v_mov_b32_e32 v1, 0x5a00
	v_lshlrev_b32_e32 v0, 4, v8
	v_cndmask_b32_e32 v1, 0, v1, vcc
	v_add3_u32 v4, 0, v1, v0
	v_add_f64 v[0:1], v[102:103], -v[126:127]
	v_add_f64 v[2:3], v[104:105], -v[128:129]
	;; [unrolled: 1-line block ×8, first 2 shown]
	v_fma_f64 v[82:83], v[82:83], 2.0, -v[94:95]
	v_fma_f64 v[84:85], v[84:85], 2.0, -v[96:97]
	;; [unrolled: 1-line block ×4, first 2 shown]
	v_add_f64 v[42:43], v[118:119], -v[142:143]
	v_add_f64 v[44:45], v[120:121], -v[144:145]
	v_add_f64 v[62:63], v[122:123], -v[146:147]
	v_add_f64 v[64:65], v[124:125], -v[148:149]
	v_add_f64 v[66:67], v[98:99], -v[150:151]
	v_add_f64 v[68:69], v[100:101], -v[70:71]
	v_fma_f64 v[30:31], v[106:107], 2.0, -v[12:13]
	v_fma_f64 v[32:33], v[108:109], 2.0, -v[14:15]
	;; [unrolled: 1-line block ×6, first 2 shown]
	ds_write_b128 v4, v[82:85]
	ds_write_b128 v4, v[94:97] offset:11520
	v_fma_f64 v[78:79], v[118:119], 2.0, -v[42:43]
	v_fma_f64 v[80:81], v[120:121], 2.0, -v[44:45]
	;; [unrolled: 1-line block ×6, first 2 shown]
	ds_write_b128 v73, v[26:29] offset:23808
	ds_write_b128 v73, v[0:3] offset:35328
	;; [unrolled: 1-line block ×14, first 2 shown]
	v_add_co_u32_e32 v0, vcc, s24, v10
	v_addc_co_u32_e32 v1, vcc, 0, v11, vcc
	s_waitcnt lgkmcnt(0)
	s_barrier
	global_load_dwordx4 v[0:3], v[0:1], off offset:2400
	s_nop 0
	global_load_dwordx4 v[4:7], v[6:7], off offset:3936
	v_add_co_u32_e32 v18, vcc, s4, v24
	v_addc_co_u32_e32 v19, vcc, 0, v25, vcc
	global_load_dwordx4 v[8:11], v[18:19], off offset:1376
	global_load_dwordx4 v[12:15], v[18:19], off offset:2912
	v_add_co_u32_e32 v16, vcc, s24, v16
	v_addc_co_u32_e32 v17, vcc, 0, v17, vcc
	global_load_dwordx4 v[16:19], v[16:17], off offset:2400
	s_movk_i32 s4, 0x7000
	v_add_co_u32_e32 v26, vcc, s4, v24
	v_addc_co_u32_e32 v27, vcc, 0, v25, vcc
	global_load_dwordx4 v[20:23], v[26:27], off offset:1888
	s_mov_b32 s4, 0x8000
	global_load_dwordx4 v[26:29], v[26:27], off offset:3424
	v_add_co_u32_e32 v42, vcc, s4, v24
	v_addc_co_u32_e32 v43, vcc, 0, v25, vcc
	global_load_dwordx4 v[30:33], v[42:43], off offset:864
	v_add_co_u32_e32 v34, vcc, s12, v58
	v_addc_co_u32_e32 v35, vcc, v48, v59, vcc
	v_add_co_u32_e32 v44, vcc, s24, v34
	v_addc_co_u32_e32 v45, vcc, 0, v35, vcc
	global_load_dwordx4 v[34:37], v[44:45], off offset:2400
	global_load_dwordx4 v[38:41], v[42:43], off offset:3936
	s_mov_b32 s4, 0x9000
	v_add_co_u32_e32 v46, vcc, s4, v24
	v_addc_co_u32_e32 v47, vcc, 0, v25, vcc
	global_load_dwordx4 v[42:45], v[46:47], off offset:1376
	global_load_dwordx4 v[62:65], v[46:47], off offset:2912
	v_add_co_u32_e32 v46, vcc, s12, v60
	v_addc_co_u32_e32 v47, vcc, v48, v61, vcc
	v_add_co_u32_e32 v46, vcc, s24, v46
	v_addc_co_u32_e32 v47, vcc, 0, v47, vcc
	global_load_dwordx4 v[46:49], v[46:47], off offset:2400
	s_mov_b32 s4, 0xa000
	v_add_co_u32_e32 v24, vcc, s4, v24
	v_addc_co_u32_e32 v25, vcc, 0, v25, vcc
	global_load_dwordx4 v[58:61], v[24:25], off offset:1888
	global_load_dwordx4 v[66:69], v[24:25], off offset:3424
	ds_read_b128 v[74:77], v73 offset:23040
	ds_read_b128 v[78:81], v73 offset:21504
	;; [unrolled: 1-line block ×5, first 2 shown]
	s_waitcnt vmcnt(14) lgkmcnt(4)
	v_mul_f64 v[24:25], v[76:77], v[2:3]
	v_mul_f64 v[2:3], v[74:75], v[2:3]
	s_waitcnt vmcnt(13) lgkmcnt(2)
	v_mul_f64 v[50:51], v[84:85], v[6:7]
	v_mul_f64 v[6:7], v[82:83], v[6:7]
	;; [unrolled: 3-line block ×3, first 2 shown]
	v_fma_f64 v[24:25], v[74:75], v[0:1], v[24:25]
	v_fma_f64 v[74:75], v[76:77], v[0:1], -v[2:3]
	ds_read_b128 v[0:3], v73 offset:29184
	s_waitcnt vmcnt(11) lgkmcnt(1)
	v_mul_f64 v[76:77], v[92:93], v[14:15]
	v_mul_f64 v[14:15], v[90:91], v[14:15]
	v_fma_f64 v[50:51], v[82:83], v[4:5], v[50:51]
	v_fma_f64 v[82:83], v[84:85], v[4:5], -v[6:7]
	s_waitcnt vmcnt(10) lgkmcnt(0)
	v_mul_f64 v[84:85], v[2:3], v[18:19]
	ds_read_b128 v[4:7], v73 offset:30720
	v_mul_f64 v[18:19], v[0:1], v[18:19]
	v_fma_f64 v[70:71], v[86:87], v[8:9], v[70:71]
	v_fma_f64 v[86:87], v[88:89], v[8:9], -v[10:11]
	ds_read_b128 v[8:11], v73 offset:32256
	v_fma_f64 v[76:77], v[90:91], v[12:13], v[76:77]
	s_waitcnt vmcnt(9) lgkmcnt(1)
	v_mul_f64 v[88:89], v[6:7], v[22:23]
	v_mul_f64 v[22:23], v[4:5], v[22:23]
	v_fma_f64 v[90:91], v[92:93], v[12:13], -v[14:15]
	ds_read_b128 v[12:15], v73 offset:33792
	v_fma_f64 v[84:85], v[0:1], v[16:17], v[84:85]
	s_waitcnt vmcnt(8) lgkmcnt(1)
	v_mul_f64 v[92:93], v[10:11], v[28:29]
	v_mul_f64 v[28:29], v[8:9], v[28:29]
	v_fma_f64 v[94:95], v[2:3], v[16:17], -v[18:19]
	ds_read_b128 v[0:3], v73 offset:35328
	s_waitcnt vmcnt(7) lgkmcnt(1)
	v_mul_f64 v[16:17], v[14:15], v[32:33]
	v_mul_f64 v[18:19], v[12:13], v[32:33]
	v_fma_f64 v[88:89], v[4:5], v[20:21], v[88:89]
	v_fma_f64 v[96:97], v[6:7], v[20:21], -v[22:23]
	s_waitcnt vmcnt(6) lgkmcnt(0)
	v_mul_f64 v[20:21], v[2:3], v[36:37]
	ds_read_b128 v[4:7], v73 offset:36864
	v_mul_f64 v[22:23], v[0:1], v[36:37]
	v_fma_f64 v[92:93], v[8:9], v[26:27], v[92:93]
	v_fma_f64 v[98:99], v[10:11], v[26:27], -v[28:29]
	ds_read_b128 v[8:11], v73 offset:38400
	v_fma_f64 v[100:101], v[12:13], v[30:31], v[16:17]
	v_fma_f64 v[102:103], v[14:15], v[30:31], -v[18:19]
	s_waitcnt vmcnt(5) lgkmcnt(1)
	v_mul_f64 v[16:17], v[6:7], v[40:41]
	v_mul_f64 v[18:19], v[4:5], v[40:41]
	s_waitcnt vmcnt(4) lgkmcnt(0)
	v_mul_f64 v[26:27], v[10:11], v[44:45]
	ds_read_b128 v[12:15], v73 offset:39936
	v_fma_f64 v[104:105], v[0:1], v[34:35], v[20:21]
	v_fma_f64 v[106:107], v[2:3], v[34:35], -v[22:23]
	ds_read_b128 v[0:3], v73 offset:41472
	v_mul_f64 v[20:21], v[8:9], v[44:45]
	s_waitcnt vmcnt(3) lgkmcnt(1)
	v_mul_f64 v[22:23], v[14:15], v[64:65]
	v_fma_f64 v[108:109], v[4:5], v[38:39], v[16:17]
	v_fma_f64 v[110:111], v[6:7], v[38:39], -v[18:19]
	v_mul_f64 v[16:17], v[12:13], v[64:65]
	s_waitcnt vmcnt(2) lgkmcnt(0)
	v_mul_f64 v[18:19], v[2:3], v[48:49]
	v_fma_f64 v[112:113], v[8:9], v[42:43], v[26:27]
	ds_read_b128 v[4:7], v73 offset:43008
	v_fma_f64 v[114:115], v[10:11], v[42:43], -v[20:21]
	ds_read_b128 v[8:11], v73 offset:44544
	v_fma_f64 v[116:117], v[12:13], v[62:63], v[22:23]
	v_mul_f64 v[20:21], v[0:1], v[48:49]
	s_waitcnt vmcnt(1) lgkmcnt(1)
	v_mul_f64 v[22:23], v[6:7], v[60:61]
	v_fma_f64 v[118:119], v[14:15], v[62:63], -v[16:17]
	v_fma_f64 v[120:121], v[0:1], v[46:47], v[18:19]
	s_waitcnt vmcnt(0) lgkmcnt(0)
	v_mul_f64 v[16:17], v[10:11], v[68:69]
	v_mul_f64 v[18:19], v[8:9], v[68:69]
	;; [unrolled: 1-line block ×3, first 2 shown]
	ds_read_b128 v[12:15], v73
	v_fma_f64 v[122:123], v[2:3], v[46:47], -v[20:21]
	ds_read_b128 v[0:3], v73 offset:1536
	v_fma_f64 v[124:125], v[4:5], v[58:59], v[22:23]
	ds_read_b128 v[20:23], v73 offset:4608
	v_fma_f64 v[128:129], v[8:9], v[66:67], v[16:17]
	v_fma_f64 v[130:131], v[10:11], v[66:67], -v[18:19]
	ds_read_b128 v[8:11], v73 offset:3072
	ds_read_b128 v[32:35], v73 offset:6144
	;; [unrolled: 1-line block ×4, first 2 shown]
	v_fma_f64 v[126:127], v[6:7], v[58:59], -v[26:27]
	ds_read_b128 v[58:61], v73 offset:10752
	s_waitcnt lgkmcnt(7)
	v_add_f64 v[6:7], v[14:15], -v[74:75]
	s_waitcnt lgkmcnt(6)
	v_add_f64 v[16:17], v[0:1], -v[50:51]
	v_add_f64 v[18:19], v[2:3], -v[82:83]
	s_waitcnt lgkmcnt(5)
	v_add_f64 v[28:29], v[20:21], -v[76:77]
	;; [unrolled: 3-line block ×4, first 2 shown]
	s_waitcnt lgkmcnt(1)
	v_add_f64 v[62:63], v[44:45], -v[92:93]
	ds_read_b128 v[74:77], v73 offset:12288
	ds_read_b128 v[82:85], v73 offset:13824
	;; [unrolled: 1-line block ×4, first 2 shown]
	v_add_f64 v[4:5], v[12:13], -v[24:25]
	v_add_f64 v[26:27], v[10:11], -v[86:87]
	;; [unrolled: 1-line block ×3, first 2 shown]
	s_waitcnt lgkmcnt(4)
	v_add_f64 v[66:67], v[58:59], -v[100:101]
	v_add_f64 v[68:69], v[60:61], -v[102:103]
	s_waitcnt lgkmcnt(3)
	v_add_f64 v[86:87], v[74:75], -v[104:105]
	v_add_f64 v[88:89], v[76:77], -v[106:107]
	s_waitcnt lgkmcnt(2)
	v_add_f64 v[100:101], v[84:85], -v[110:111]
	s_waitcnt lgkmcnt(1)
	v_add_f64 v[102:103], v[90:91], -v[112:113]
	v_add_f64 v[104:105], v[92:93], -v[114:115]
	s_waitcnt lgkmcnt(0)
	v_add_f64 v[106:107], v[94:95], -v[116:117]
	ds_read_b128 v[110:113], v73 offset:18432
	ds_read_b128 v[114:117], v73 offset:19968
	v_add_f64 v[24:25], v[8:9], -v[70:71]
	v_fma_f64 v[12:13], v[12:13], 2.0, -v[4:5]
	v_fma_f64 v[14:15], v[14:15], 2.0, -v[6:7]
	v_add_f64 v[64:65], v[46:47], -v[98:99]
	v_add_f64 v[98:99], v[82:83], -v[108:109]
	v_add_f64 v[108:109], v[96:97], -v[118:119]
	s_waitcnt lgkmcnt(1)
	v_add_f64 v[118:119], v[110:111], -v[120:121]
	v_add_f64 v[120:121], v[112:113], -v[122:123]
	s_waitcnt lgkmcnt(0)
	v_add_f64 v[122:123], v[114:115], -v[124:125]
	v_add_f64 v[124:125], v[116:117], -v[126:127]
	;; [unrolled: 1-line block ×4, first 2 shown]
	v_fma_f64 v[0:1], v[0:1], 2.0, -v[16:17]
	v_fma_f64 v[2:3], v[2:3], 2.0, -v[18:19]
	;; [unrolled: 1-line block ×28, first 2 shown]
	s_barrier
	ds_write_b128 v73, v[12:15]
	ds_write_b128 v73, v[4:7] offset:23040
	ds_write_b128 v73, v[0:3] offset:1536
	;; [unrolled: 1-line block ×29, first 2 shown]
	s_waitcnt lgkmcnt(0)
	s_barrier
	s_and_saveexec_b64 s[4:5], s[0:1]
	s_cbranch_execz .LBB0_21
; %bb.20:
	v_mul_lo_u32 v0, s3, v56
	v_mul_lo_u32 v1, s2, v57
	v_mad_u64_u32 v[4:5], s[0:1], s2, v56, 0
	v_mov_b32_e32 v6, s11
	v_lshl_add_u32 v10, v52, 4, 0
	v_add3_u32 v5, v5, v1, v0
	v_lshlrev_b64 v[4:5], 4, v[4:5]
	ds_read_b128 v[0:3], v10
	v_add_co_u32_e32 v7, vcc, s10, v4
	v_addc_co_u32_e32 v6, vcc, v6, v5, vcc
	v_lshlrev_b64 v[4:5], 4, v[54:55]
	v_add_co_u32_e32 v11, vcc, v7, v4
	v_addc_co_u32_e32 v12, vcc, v6, v5, vcc
	v_lshlrev_b64 v[4:5], 4, v[52:53]
	v_add_co_u32_e32 v8, vcc, v11, v4
	v_addc_co_u32_e32 v9, vcc, v12, v5, vcc
	ds_read_b128 v[4:7], v10 offset:1536
	s_waitcnt lgkmcnt(1)
	global_store_dwordx4 v[8:9], v[0:3], off
	s_nop 0
	v_add_u32_e32 v0, 0x60, v52
	v_mov_b32_e32 v1, v53
	v_lshlrev_b64 v[0:1], 4, v[0:1]
	v_add_co_u32_e32 v0, vcc, v11, v0
	v_addc_co_u32_e32 v1, vcc, v12, v1, vcc
	s_waitcnt lgkmcnt(0)
	global_store_dwordx4 v[0:1], v[4:7], off
	ds_read_b128 v[0:3], v10 offset:3072
	v_add_u32_e32 v4, 0xc0, v52
	v_mov_b32_e32 v5, v53
	v_lshlrev_b64 v[4:5], 4, v[4:5]
	v_add_co_u32_e32 v8, vcc, v11, v4
	v_addc_co_u32_e32 v9, vcc, v12, v5, vcc
	ds_read_b128 v[4:7], v10 offset:4608
	s_waitcnt lgkmcnt(1)
	global_store_dwordx4 v[8:9], v[0:3], off
	s_nop 0
	v_add_u32_e32 v0, 0x120, v52
	v_mov_b32_e32 v1, v53
	v_lshlrev_b64 v[0:1], 4, v[0:1]
	v_add_co_u32_e32 v0, vcc, v11, v0
	v_addc_co_u32_e32 v1, vcc, v12, v1, vcc
	s_waitcnt lgkmcnt(0)
	global_store_dwordx4 v[0:1], v[4:7], off
	ds_read_b128 v[0:3], v10 offset:6144
	v_add_u32_e32 v4, 0x180, v52
	v_mov_b32_e32 v5, v53
	;; [unrolled: 17-line block ×14, first 2 shown]
	v_lshlrev_b64 v[4:5], 4, v[4:5]
	v_add_u32_e32 v52, 0xae0, v52
	v_add_co_u32_e32 v8, vcc, v11, v4
	v_addc_co_u32_e32 v9, vcc, v12, v5, vcc
	ds_read_b128 v[4:7], v10 offset:44544
	s_waitcnt lgkmcnt(1)
	global_store_dwordx4 v[8:9], v[0:3], off
	s_nop 0
	v_lshlrev_b64 v[0:1], 4, v[52:53]
	v_add_co_u32_e32 v0, vcc, v11, v0
	v_addc_co_u32_e32 v1, vcc, v12, v1, vcc
	s_waitcnt lgkmcnt(0)
	global_store_dwordx4 v[0:1], v[4:7], off
.LBB0_21:
	s_endpgm
	.section	.rodata,"a",@progbits
	.p2align	6, 0x0
	.amdhsa_kernel fft_rtc_back_len2880_factors_10_6_6_2_2_2_wgs_96_tpt_96_halfLds_dp_op_CI_CI_unitstride_sbrr_C2R_dirReg
		.amdhsa_group_segment_fixed_size 0
		.amdhsa_private_segment_fixed_size 0
		.amdhsa_kernarg_size 104
		.amdhsa_user_sgpr_count 6
		.amdhsa_user_sgpr_private_segment_buffer 1
		.amdhsa_user_sgpr_dispatch_ptr 0
		.amdhsa_user_sgpr_queue_ptr 0
		.amdhsa_user_sgpr_kernarg_segment_ptr 1
		.amdhsa_user_sgpr_dispatch_id 0
		.amdhsa_user_sgpr_flat_scratch_init 0
		.amdhsa_user_sgpr_private_segment_size 0
		.amdhsa_uses_dynamic_stack 0
		.amdhsa_system_sgpr_private_segment_wavefront_offset 0
		.amdhsa_system_sgpr_workgroup_id_x 1
		.amdhsa_system_sgpr_workgroup_id_y 0
		.amdhsa_system_sgpr_workgroup_id_z 0
		.amdhsa_system_sgpr_workgroup_info 0
		.amdhsa_system_vgpr_workitem_id 0
		.amdhsa_next_free_vgpr 254
		.amdhsa_next_free_sgpr 29
		.amdhsa_reserve_vcc 1
		.amdhsa_reserve_flat_scratch 0
		.amdhsa_float_round_mode_32 0
		.amdhsa_float_round_mode_16_64 0
		.amdhsa_float_denorm_mode_32 3
		.amdhsa_float_denorm_mode_16_64 3
		.amdhsa_dx10_clamp 1
		.amdhsa_ieee_mode 1
		.amdhsa_fp16_overflow 0
		.amdhsa_exception_fp_ieee_invalid_op 0
		.amdhsa_exception_fp_denorm_src 0
		.amdhsa_exception_fp_ieee_div_zero 0
		.amdhsa_exception_fp_ieee_overflow 0
		.amdhsa_exception_fp_ieee_underflow 0
		.amdhsa_exception_fp_ieee_inexact 0
		.amdhsa_exception_int_div_zero 0
	.end_amdhsa_kernel
	.text
.Lfunc_end0:
	.size	fft_rtc_back_len2880_factors_10_6_6_2_2_2_wgs_96_tpt_96_halfLds_dp_op_CI_CI_unitstride_sbrr_C2R_dirReg, .Lfunc_end0-fft_rtc_back_len2880_factors_10_6_6_2_2_2_wgs_96_tpt_96_halfLds_dp_op_CI_CI_unitstride_sbrr_C2R_dirReg
                                        ; -- End function
	.section	.AMDGPU.csdata,"",@progbits
; Kernel info:
; codeLenInByte = 23988
; NumSgprs: 33
; NumVgprs: 254
; ScratchSize: 0
; MemoryBound: 0
; FloatMode: 240
; IeeeMode: 1
; LDSByteSize: 0 bytes/workgroup (compile time only)
; SGPRBlocks: 4
; VGPRBlocks: 63
; NumSGPRsForWavesPerEU: 33
; NumVGPRsForWavesPerEU: 254
; Occupancy: 1
; WaveLimiterHint : 1
; COMPUTE_PGM_RSRC2:SCRATCH_EN: 0
; COMPUTE_PGM_RSRC2:USER_SGPR: 6
; COMPUTE_PGM_RSRC2:TRAP_HANDLER: 0
; COMPUTE_PGM_RSRC2:TGID_X_EN: 1
; COMPUTE_PGM_RSRC2:TGID_Y_EN: 0
; COMPUTE_PGM_RSRC2:TGID_Z_EN: 0
; COMPUTE_PGM_RSRC2:TIDIG_COMP_CNT: 0
	.type	__hip_cuid_17a149f1bb860e59,@object ; @__hip_cuid_17a149f1bb860e59
	.section	.bss,"aw",@nobits
	.globl	__hip_cuid_17a149f1bb860e59
__hip_cuid_17a149f1bb860e59:
	.byte	0                               ; 0x0
	.size	__hip_cuid_17a149f1bb860e59, 1

	.ident	"AMD clang version 19.0.0git (https://github.com/RadeonOpenCompute/llvm-project roc-6.4.0 25133 c7fe45cf4b819c5991fe208aaa96edf142730f1d)"
	.section	".note.GNU-stack","",@progbits
	.addrsig
	.addrsig_sym __hip_cuid_17a149f1bb860e59
	.amdgpu_metadata
---
amdhsa.kernels:
  - .args:
      - .actual_access:  read_only
        .address_space:  global
        .offset:         0
        .size:           8
        .value_kind:     global_buffer
      - .offset:         8
        .size:           8
        .value_kind:     by_value
      - .actual_access:  read_only
        .address_space:  global
        .offset:         16
        .size:           8
        .value_kind:     global_buffer
      - .actual_access:  read_only
        .address_space:  global
        .offset:         24
        .size:           8
        .value_kind:     global_buffer
      - .actual_access:  read_only
        .address_space:  global
        .offset:         32
        .size:           8
        .value_kind:     global_buffer
      - .offset:         40
        .size:           8
        .value_kind:     by_value
      - .actual_access:  read_only
        .address_space:  global
        .offset:         48
        .size:           8
        .value_kind:     global_buffer
      - .actual_access:  read_only
        .address_space:  global
        .offset:         56
        .size:           8
        .value_kind:     global_buffer
      - .offset:         64
        .size:           4
        .value_kind:     by_value
      - .actual_access:  read_only
        .address_space:  global
        .offset:         72
        .size:           8
        .value_kind:     global_buffer
      - .actual_access:  read_only
        .address_space:  global
        .offset:         80
        .size:           8
        .value_kind:     global_buffer
      - .actual_access:  read_only
        .address_space:  global
        .offset:         88
        .size:           8
        .value_kind:     global_buffer
      - .actual_access:  write_only
        .address_space:  global
        .offset:         96
        .size:           8
        .value_kind:     global_buffer
    .group_segment_fixed_size: 0
    .kernarg_segment_align: 8
    .kernarg_segment_size: 104
    .language:       OpenCL C
    .language_version:
      - 2
      - 0
    .max_flat_workgroup_size: 96
    .name:           fft_rtc_back_len2880_factors_10_6_6_2_2_2_wgs_96_tpt_96_halfLds_dp_op_CI_CI_unitstride_sbrr_C2R_dirReg
    .private_segment_fixed_size: 0
    .sgpr_count:     33
    .sgpr_spill_count: 0
    .symbol:         fft_rtc_back_len2880_factors_10_6_6_2_2_2_wgs_96_tpt_96_halfLds_dp_op_CI_CI_unitstride_sbrr_C2R_dirReg.kd
    .uniform_work_group_size: 1
    .uses_dynamic_stack: false
    .vgpr_count:     254
    .vgpr_spill_count: 0
    .wavefront_size: 64
amdhsa.target:   amdgcn-amd-amdhsa--gfx906
amdhsa.version:
  - 1
  - 2
...

	.end_amdgpu_metadata
